;; amdgpu-corpus repo=ROCm/rocFFT kind=compiled arch=gfx906 opt=O3
	.text
	.amdgcn_target "amdgcn-amd-amdhsa--gfx906"
	.amdhsa_code_object_version 6
	.protected	fft_rtc_back_len3750_factors_3_5_5_10_5_wgs_125_tpt_125_halfLds_dp_op_CI_CI_unitstride_sbrr_dirReg ; -- Begin function fft_rtc_back_len3750_factors_3_5_5_10_5_wgs_125_tpt_125_halfLds_dp_op_CI_CI_unitstride_sbrr_dirReg
	.globl	fft_rtc_back_len3750_factors_3_5_5_10_5_wgs_125_tpt_125_halfLds_dp_op_CI_CI_unitstride_sbrr_dirReg
	.p2align	8
	.type	fft_rtc_back_len3750_factors_3_5_5_10_5_wgs_125_tpt_125_halfLds_dp_op_CI_CI_unitstride_sbrr_dirReg,@function
fft_rtc_back_len3750_factors_3_5_5_10_5_wgs_125_tpt_125_halfLds_dp_op_CI_CI_unitstride_sbrr_dirReg: ; @fft_rtc_back_len3750_factors_3_5_5_10_5_wgs_125_tpt_125_halfLds_dp_op_CI_CI_unitstride_sbrr_dirReg
; %bb.0:
	s_load_dwordx4 s[8:11], s[4:5], 0x58
	s_load_dwordx4 s[12:15], s[4:5], 0x0
	;; [unrolled: 1-line block ×3, first 2 shown]
	v_mul_u32_u24_e32 v1, 0x20d, v0
	v_add_u32_sdwa v6, s6, v1 dst_sel:DWORD dst_unused:UNUSED_PAD src0_sel:DWORD src1_sel:WORD_1
	v_mov_b32_e32 v1, 0
	s_waitcnt lgkmcnt(0)
	v_cmp_lt_u64_e64 s[0:1], s[14:15], 2
	v_mov_b32_e32 v4, 0
	v_mov_b32_e32 v7, v1
	s_and_b64 vcc, exec, s[0:1]
	v_mov_b32_e32 v5, 0
	s_cbranch_vccnz .LBB0_8
; %bb.1:
	s_load_dwordx2 s[0:1], s[4:5], 0x10
	s_add_u32 s2, s18, 8
	s_addc_u32 s3, s19, 0
	s_add_u32 s6, s16, 8
	v_mov_b32_e32 v4, 0
	s_addc_u32 s7, s17, 0
	v_mov_b32_e32 v5, 0
	s_waitcnt lgkmcnt(0)
	s_add_u32 s20, s0, 8
	v_mov_b32_e32 v167, v5
	s_addc_u32 s21, s1, 0
	s_mov_b64 s[22:23], 1
	v_mov_b32_e32 v166, v4
.LBB0_2:                                ; =>This Inner Loop Header: Depth=1
	s_load_dwordx2 s[24:25], s[20:21], 0x0
                                        ; implicit-def: $vgpr168_vgpr169
	s_waitcnt lgkmcnt(0)
	v_or_b32_e32 v2, s25, v7
	v_cmp_ne_u64_e32 vcc, 0, v[1:2]
	s_and_saveexec_b64 s[0:1], vcc
	s_xor_b64 s[26:27], exec, s[0:1]
	s_cbranch_execz .LBB0_4
; %bb.3:                                ;   in Loop: Header=BB0_2 Depth=1
	v_cvt_f32_u32_e32 v2, s24
	v_cvt_f32_u32_e32 v3, s25
	s_sub_u32 s0, 0, s24
	s_subb_u32 s1, 0, s25
	v_mac_f32_e32 v2, 0x4f800000, v3
	v_rcp_f32_e32 v2, v2
	v_mul_f32_e32 v2, 0x5f7ffffc, v2
	v_mul_f32_e32 v3, 0x2f800000, v2
	v_trunc_f32_e32 v3, v3
	v_mac_f32_e32 v2, 0xcf800000, v3
	v_cvt_u32_f32_e32 v3, v3
	v_cvt_u32_f32_e32 v2, v2
	v_mul_lo_u32 v8, s0, v3
	v_mul_hi_u32 v9, s0, v2
	v_mul_lo_u32 v11, s1, v2
	v_mul_lo_u32 v10, s0, v2
	v_add_u32_e32 v8, v9, v8
	v_add_u32_e32 v8, v8, v11
	v_mul_hi_u32 v9, v2, v10
	v_mul_lo_u32 v11, v2, v8
	v_mul_hi_u32 v13, v2, v8
	v_mul_hi_u32 v12, v3, v10
	v_mul_lo_u32 v10, v3, v10
	v_mul_hi_u32 v14, v3, v8
	v_add_co_u32_e32 v9, vcc, v9, v11
	v_addc_co_u32_e32 v11, vcc, 0, v13, vcc
	v_mul_lo_u32 v8, v3, v8
	v_add_co_u32_e32 v9, vcc, v9, v10
	v_addc_co_u32_e32 v9, vcc, v11, v12, vcc
	v_addc_co_u32_e32 v10, vcc, 0, v14, vcc
	v_add_co_u32_e32 v8, vcc, v9, v8
	v_addc_co_u32_e32 v9, vcc, 0, v10, vcc
	v_add_co_u32_e32 v2, vcc, v2, v8
	v_addc_co_u32_e32 v3, vcc, v3, v9, vcc
	v_mul_lo_u32 v8, s0, v3
	v_mul_hi_u32 v9, s0, v2
	v_mul_lo_u32 v10, s1, v2
	v_mul_lo_u32 v11, s0, v2
	v_add_u32_e32 v8, v9, v8
	v_add_u32_e32 v8, v8, v10
	v_mul_lo_u32 v12, v2, v8
	v_mul_hi_u32 v13, v2, v11
	v_mul_hi_u32 v14, v2, v8
	v_mul_hi_u32 v10, v3, v11
	v_mul_lo_u32 v11, v3, v11
	v_mul_hi_u32 v9, v3, v8
	v_add_co_u32_e32 v12, vcc, v13, v12
	v_addc_co_u32_e32 v13, vcc, 0, v14, vcc
	v_mul_lo_u32 v8, v3, v8
	v_add_co_u32_e32 v11, vcc, v12, v11
	v_addc_co_u32_e32 v10, vcc, v13, v10, vcc
	v_addc_co_u32_e32 v9, vcc, 0, v9, vcc
	v_add_co_u32_e32 v8, vcc, v10, v8
	v_addc_co_u32_e32 v9, vcc, 0, v9, vcc
	v_add_co_u32_e32 v8, vcc, v2, v8
	v_addc_co_u32_e32 v9, vcc, v3, v9, vcc
	v_mad_u64_u32 v[2:3], s[0:1], v6, v9, 0
	v_mul_hi_u32 v10, v6, v8
	v_add_co_u32_e32 v10, vcc, v10, v2
	v_addc_co_u32_e32 v11, vcc, 0, v3, vcc
	v_mad_u64_u32 v[2:3], s[0:1], v7, v8, 0
	v_mad_u64_u32 v[8:9], s[0:1], v7, v9, 0
	v_add_co_u32_e32 v2, vcc, v10, v2
	v_addc_co_u32_e32 v2, vcc, v11, v3, vcc
	v_addc_co_u32_e32 v3, vcc, 0, v9, vcc
	v_add_co_u32_e32 v8, vcc, v2, v8
	v_addc_co_u32_e32 v9, vcc, 0, v3, vcc
	v_mul_lo_u32 v10, s25, v8
	v_mul_lo_u32 v11, s24, v9
	v_mad_u64_u32 v[2:3], s[0:1], s24, v8, 0
	v_add3_u32 v3, v3, v11, v10
	v_sub_u32_e32 v10, v7, v3
	v_mov_b32_e32 v11, s25
	v_sub_co_u32_e32 v2, vcc, v6, v2
	v_subb_co_u32_e64 v10, s[0:1], v10, v11, vcc
	v_subrev_co_u32_e64 v11, s[0:1], s24, v2
	v_subbrev_co_u32_e64 v10, s[0:1], 0, v10, s[0:1]
	v_cmp_le_u32_e64 s[0:1], s25, v10
	v_cndmask_b32_e64 v12, 0, -1, s[0:1]
	v_cmp_le_u32_e64 s[0:1], s24, v11
	v_cndmask_b32_e64 v11, 0, -1, s[0:1]
	v_cmp_eq_u32_e64 s[0:1], s25, v10
	v_cndmask_b32_e64 v10, v12, v11, s[0:1]
	v_add_co_u32_e64 v11, s[0:1], 2, v8
	v_addc_co_u32_e64 v12, s[0:1], 0, v9, s[0:1]
	v_add_co_u32_e64 v13, s[0:1], 1, v8
	v_addc_co_u32_e64 v14, s[0:1], 0, v9, s[0:1]
	v_subb_co_u32_e32 v3, vcc, v7, v3, vcc
	v_cmp_ne_u32_e64 s[0:1], 0, v10
	v_cmp_le_u32_e32 vcc, s25, v3
	v_cndmask_b32_e64 v10, v14, v12, s[0:1]
	v_cndmask_b32_e64 v12, 0, -1, vcc
	v_cmp_le_u32_e32 vcc, s24, v2
	v_cndmask_b32_e64 v2, 0, -1, vcc
	v_cmp_eq_u32_e32 vcc, s25, v3
	v_cndmask_b32_e32 v2, v12, v2, vcc
	v_cmp_ne_u32_e32 vcc, 0, v2
	v_cndmask_b32_e64 v2, v13, v11, s[0:1]
	v_cndmask_b32_e32 v169, v9, v10, vcc
	v_cndmask_b32_e32 v168, v8, v2, vcc
.LBB0_4:                                ;   in Loop: Header=BB0_2 Depth=1
	s_andn2_saveexec_b64 s[0:1], s[26:27]
	s_cbranch_execz .LBB0_6
; %bb.5:                                ;   in Loop: Header=BB0_2 Depth=1
	v_cvt_f32_u32_e32 v2, s24
	s_sub_i32 s26, 0, s24
	v_mov_b32_e32 v169, v1
	v_rcp_iflag_f32_e32 v2, v2
	v_mul_f32_e32 v2, 0x4f7ffffe, v2
	v_cvt_u32_f32_e32 v2, v2
	v_mul_lo_u32 v3, s26, v2
	v_mul_hi_u32 v3, v2, v3
	v_add_u32_e32 v2, v2, v3
	v_mul_hi_u32 v2, v6, v2
	v_mul_lo_u32 v3, v2, s24
	v_add_u32_e32 v8, 1, v2
	v_sub_u32_e32 v3, v6, v3
	v_subrev_u32_e32 v9, s24, v3
	v_cmp_le_u32_e32 vcc, s24, v3
	v_cndmask_b32_e32 v3, v3, v9, vcc
	v_cndmask_b32_e32 v2, v2, v8, vcc
	v_add_u32_e32 v8, 1, v2
	v_cmp_le_u32_e32 vcc, s24, v3
	v_cndmask_b32_e32 v168, v2, v8, vcc
.LBB0_6:                                ;   in Loop: Header=BB0_2 Depth=1
	s_or_b64 exec, exec, s[0:1]
	v_mul_lo_u32 v8, v169, s24
	v_mul_lo_u32 v9, v168, s25
	v_mad_u64_u32 v[2:3], s[0:1], v168, s24, 0
	s_load_dwordx2 s[0:1], s[6:7], 0x0
	s_load_dwordx2 s[24:25], s[2:3], 0x0
	v_add3_u32 v3, v3, v9, v8
	v_sub_co_u32_e32 v2, vcc, v6, v2
	v_subb_co_u32_e32 v3, vcc, v7, v3, vcc
	s_waitcnt lgkmcnt(0)
	v_mul_lo_u32 v6, s0, v3
	v_mul_lo_u32 v7, s1, v2
	v_mad_u64_u32 v[4:5], s[0:1], s0, v2, v[4:5]
	v_mul_lo_u32 v3, s24, v3
	v_mul_lo_u32 v8, s25, v2
	v_mad_u64_u32 v[166:167], s[0:1], s24, v2, v[166:167]
	s_add_u32 s22, s22, 1
	s_addc_u32 s23, s23, 0
	s_add_u32 s2, s2, 8
	v_add3_u32 v167, v8, v167, v3
	s_addc_u32 s3, s3, 0
	v_mov_b32_e32 v2, s14
	s_add_u32 s6, s6, 8
	v_mov_b32_e32 v3, s15
	s_addc_u32 s7, s7, 0
	v_cmp_ge_u64_e32 vcc, s[22:23], v[2:3]
	s_add_u32 s20, s20, 8
	v_add3_u32 v5, v7, v5, v6
	s_addc_u32 s21, s21, 0
	s_cbranch_vccnz .LBB0_9
; %bb.7:                                ;   in Loop: Header=BB0_2 Depth=1
	v_mov_b32_e32 v6, v168
	v_mov_b32_e32 v7, v169
	s_branch .LBB0_2
.LBB0_8:
	v_mov_b32_e32 v167, v5
	v_mov_b32_e32 v169, v7
	;; [unrolled: 1-line block ×4, first 2 shown]
.LBB0_9:
	s_load_dwordx2 s[4:5], s[4:5], 0x28
	s_lshl_b64 s[6:7], s[14:15], 3
	s_add_u32 s2, s18, s6
	s_addc_u32 s3, s19, s7
                                        ; implicit-def: $vgpr170
	s_waitcnt lgkmcnt(0)
	v_cmp_gt_u64_e64 s[0:1], s[4:5], v[168:169]
	v_cmp_le_u64_e32 vcc, s[4:5], v[168:169]
	s_and_saveexec_b64 s[4:5], vcc
	s_xor_b64 s[4:5], exec, s[4:5]
; %bb.10:
	s_mov_b32 s14, 0x20c49bb
	v_mul_hi_u32 v1, v0, s14
                                        ; implicit-def: $vgpr4_vgpr5
	v_mul_u32_u24_e32 v1, 0x7d, v1
	v_sub_u32_e32 v170, v0, v1
                                        ; implicit-def: $vgpr0
; %bb.11:
	s_or_saveexec_b64 s[4:5], s[4:5]
                                        ; implicit-def: $vgpr86_vgpr87
                                        ; implicit-def: $vgpr82_vgpr83
                                        ; implicit-def: $vgpr74_vgpr75
                                        ; implicit-def: $vgpr94_vgpr95
                                        ; implicit-def: $vgpr90_vgpr91
                                        ; implicit-def: $vgpr70_vgpr71
                                        ; implicit-def: $vgpr106_vgpr107
                                        ; implicit-def: $vgpr98_vgpr99
                                        ; implicit-def: $vgpr78_vgpr79
                                        ; implicit-def: $vgpr102_vgpr103
                                        ; implicit-def: $vgpr58_vgpr59
                                        ; implicit-def: $vgpr38_vgpr39
                                        ; implicit-def: $vgpr54_vgpr55
                                        ; implicit-def: $vgpr34_vgpr35
                                        ; implicit-def: $vgpr26_vgpr27
                                        ; implicit-def: $vgpr66_vgpr67
                                        ; implicit-def: $vgpr62_vgpr63
                                        ; implicit-def: $vgpr50_vgpr51
                                        ; implicit-def: $vgpr46_vgpr47
                                        ; implicit-def: $vgpr42_vgpr43
                                        ; implicit-def: $vgpr30_vgpr31
                                        ; implicit-def: $vgpr22_vgpr23
                                        ; implicit-def: $vgpr18_vgpr19
                                        ; implicit-def: $vgpr160_vgpr161
                                        ; implicit-def: $vgpr2_vgpr3
                                        ; implicit-def: $vgpr10_vgpr11
                                        ; implicit-def: $vgpr6_vgpr7
                                        ; implicit-def: $vgpr114_vgpr115
                                        ; implicit-def: $vgpr118_vgpr119
                                        ; implicit-def: $vgpr110_vgpr111
	s_xor_b64 exec, exec, s[4:5]
	s_cbranch_execz .LBB0_13
; %bb.12:
	s_add_u32 s6, s16, s6
	s_addc_u32 s7, s17, s7
	s_load_dwordx2 s[6:7], s[6:7], 0x0
	s_mov_b32 s14, 0x20c49bb
	v_mul_hi_u32 v3, v0, s14
	s_waitcnt lgkmcnt(0)
	v_mul_lo_u32 v6, s7, v168
	v_mul_lo_u32 v7, s6, v169
	v_mad_u64_u32 v[1:2], s[6:7], s6, v168, 0
	v_mul_u32_u24_e32 v3, 0x7d, v3
	v_sub_u32_e32 v170, v0, v3
	v_add3_u32 v2, v2, v7, v6
	v_lshlrev_b64 v[0:1], 4, v[1:2]
	v_mov_b32_e32 v2, s9
	v_add_co_u32_e32 v3, vcc, s8, v0
	v_addc_co_u32_e32 v2, vcc, v2, v1, vcc
	v_lshlrev_b64 v[0:1], 4, v[4:5]
	s_movk_i32 s6, 0x4000
	v_add_co_u32_e32 v0, vcc, v3, v0
	v_addc_co_u32_e32 v1, vcc, v2, v1, vcc
	v_lshlrev_b32_e32 v2, 4, v170
	v_add_co_u32_e32 v12, vcc, v0, v2
	v_addc_co_u32_e32 v13, vcc, 0, v1, vcc
	v_add_co_u32_e32 v14, vcc, s6, v12
	v_addc_co_u32_e32 v15, vcc, 0, v13, vcc
	s_mov_b32 s6, 0x9000
	v_add_co_u32_e32 v84, vcc, s6, v12
	v_addc_co_u32_e32 v85, vcc, 0, v13, vcc
	s_movk_i32 s6, 0x5000
	v_add_co_u32_e32 v86, vcc, s6, v12
	v_addc_co_u32_e32 v87, vcc, 0, v13, vcc
	s_mov_b32 s6, 0xa000
	v_add_co_u32_e32 v4, vcc, s6, v12
	v_addc_co_u32_e32 v5, vcc, 0, v13, vcc
	s_movk_i32 s6, 0x1000
	v_add_co_u32_e32 v6, vcc, s6, v12
	v_addc_co_u32_e32 v7, vcc, 0, v13, vcc
	s_movk_i32 s6, 0x6000
	global_load_dwordx4 v[0:3], v[4:5], off offset:1040
	global_load_dwordx4 v[16:19], v[86:87], off offset:3520
	;; [unrolled: 1-line block ×4, first 2 shown]
	v_add_co_u32_e32 v4, vcc, s6, v12
	v_addc_co_u32_e32 v5, vcc, 0, v13, vcc
	s_mov_b32 s6, 0xb000
	v_add_co_u32_e32 v8, vcc, s6, v12
	v_addc_co_u32_e32 v9, vcc, 0, v13, vcc
	s_movk_i32 s6, 0x2000
	global_load_dwordx4 v[40:43], v[4:5], off offset:1424
	global_load_dwordx4 v[48:51], v[6:7], off offset:3904
	;; [unrolled: 1-line block ×4, first 2 shown]
	v_add_co_u32_e32 v4, vcc, s6, v12
	v_addc_co_u32_e32 v5, vcc, 0, v13, vcc
	s_movk_i32 s6, 0x7000
	v_add_co_u32_e32 v6, vcc, s6, v12
	v_addc_co_u32_e32 v7, vcc, 0, v13, vcc
	s_mov_b32 s6, 0xc000
	v_add_co_u32_e32 v88, vcc, s6, v12
	v_addc_co_u32_e32 v89, vcc, 0, v13, vcc
	s_movk_i32 s6, 0x3000
	v_add_co_u32_e32 v90, vcc, s6, v12
	v_addc_co_u32_e32 v91, vcc, 0, v13, vcc
	s_mov_b32 s6, 0x8000
	v_add_co_u32_e32 v120, vcc, s6, v12
	v_addc_co_u32_e32 v121, vcc, 0, v13, vcc
	s_mov_b32 s6, 0xd000
	v_add_co_u32_e32 v122, vcc, s6, v12
	v_addc_co_u32_e32 v123, vcc, 0, v13, vcc
	v_add_co_u32_e32 v124, vcc, 0xe000, v12
	global_load_dwordx4 v[64:67], v[8:9], off offset:2944
	global_load_dwordx4 v[24:27], v[4:5], off offset:1808
	global_load_dwordx4 v[32:35], v[6:7], off offset:1328
	global_load_dwordx4 v[36:39], v[4:5], off offset:3808
	global_load_dwordx4 v[52:55], v[88:89], off offset:848
	global_load_dwordx4 v[56:59], v[6:7], off offset:3328
	v_addc_co_u32_e32 v125, vcc, 0, v13, vcc
	global_load_dwordx4 v[100:103], v[88:89], off offset:2848
	global_load_dwordx4 v[76:79], v[90:91], off offset:1712
	;; [unrolled: 1-line block ×4, first 2 shown]
	global_load_dwordx4 v[108:111], v[12:13], off
	global_load_dwordx4 v[4:7], v[12:13], off offset:2000
	global_load_dwordx4 v[158:161], v[12:13], off offset:4000
	;; [unrolled: 1-line block ×7, first 2 shown]
                                        ; kill: killed $vgpr86 killed $vgpr87
                                        ; kill: killed $vgpr12 killed $vgpr13
                                        ; kill: killed $vgpr88 killed $vgpr89
                                        ; kill: killed $vgpr84 killed $vgpr85
                                        ; kill: killed $vgpr14 killed $vgpr15
                                        ; kill: killed $vgpr90 killed $vgpr91
	global_load_dwordx4 v[88:91], v[120:121], off offset:3232
	global_load_dwordx4 v[104:107], v[122:123], off offset:752
	;; [unrolled: 1-line block ×3, first 2 shown]
                                        ; kill: killed $vgpr122 killed $vgpr123
                                        ; kill: killed $vgpr120 killed $vgpr121
	s_nop 0
	global_load_dwordx4 v[84:87], v[124:125], off offset:656
.LBB0_13:
	s_or_b64 exec, exec, s[4:5]
	s_waitcnt vmcnt(5)
	v_add_f64 v[12:13], v[112:113], v[116:117]
	v_add_f64 v[120:121], v[10:11], v[6:7]
	;; [unrolled: 1-line block ×4, first 2 shown]
	v_add_f64 v[128:129], v[118:119], -v[114:115]
	s_mov_b32 s4, 0xe8584caa
	s_mov_b32 s5, 0xbfebb67a
	v_add_f64 v[14:15], v[8:9], v[4:5]
	v_fma_f64 v[12:13], v[12:13], -0.5, v[108:109]
	v_add_f64 v[124:125], v[2:3], v[10:11]
	v_add_f64 v[10:11], v[10:11], -v[2:3]
	v_add_f64 v[130:131], v[20:21], v[16:17]
	v_add_f64 v[126:127], v[112:113], v[126:127]
	;; [unrolled: 1-line block ×3, first 2 shown]
	v_fma_f64 v[2:3], v[122:123], -0.5, v[4:5]
	v_mad_u32_u24 v181, v170, 24, 0
	v_fma_f64 v[132:133], v[128:129], s[4:5], v[12:13]
	v_add_f64 v[108:109], v[8:9], -v[0:1]
	v_add_f64 v[8:9], v[16:17], v[158:159]
	v_add_f64 v[134:135], v[44:45], v[40:41]
	;; [unrolled: 1-line block ×3, first 2 shown]
	v_fma_f64 v[189:190], v[124:125], -0.5, v[6:7]
	v_fma_f64 v[4:5], v[130:131], -0.5, v[158:159]
	v_add_f64 v[6:7], v[18:19], -v[22:23]
	ds_write2_b64 v181, v[126:127], v[132:133] offset1:1
	v_fma_f64 v[126:127], v[10:11], s[4:5], v[2:3]
	v_add_u32_e32 v191, 0xbb8, v181
	v_add_f64 v[136:137], v[64:65], v[60:61]
	v_add_f64 v[14:15], v[40:41], v[28:29]
	v_fma_f64 v[28:29], v[134:135], -0.5, v[28:29]
	v_add_f64 v[120:121], v[42:43], -v[46:47]
	v_add_f64 v[8:9], v[20:21], v[8:9]
	v_fma_f64 v[130:131], v[6:7], s[4:5], v[4:5]
	ds_write2_b64 v191, v[0:1], v[126:127] offset1:1
	v_add_f64 v[0:1], v[52:53], v[32:33]
	v_add_u32_e32 v192, 0x1770, v181
	s_mov_b32 s7, 0x3febb67a
	s_mov_b32 s6, s4
	v_add_f64 v[122:123], v[60:61], v[48:49]
	v_fma_f64 v[48:49], v[136:137], -0.5, v[48:49]
	v_add_f64 v[124:125], v[62:63], -v[66:67]
	v_add_f64 v[14:15], v[44:45], v[14:15]
	v_fma_f64 v[132:133], v[120:121], s[4:5], v[28:29]
	ds_write2_b64 v192, v[8:9], v[130:131] offset1:1
	v_fma_f64 v[0:1], v[0:1], -0.5, v[24:25]
	v_add_f64 v[8:9], v[34:35], -v[54:55]
	v_fma_f64 v[12:13], v[128:129], s[6:7], v[12:13]
	v_fma_f64 v[2:3], v[10:11], s[6:7], v[2:3]
	v_add_f64 v[10:11], v[100:101], v[56:57]
	v_fma_f64 v[4:5], v[6:7], s[6:7], v[4:5]
	v_add_f64 v[6:7], v[32:33], v[24:25]
	v_add_u32_e32 v193, 0x2328, v181
	v_add_f64 v[122:123], v[64:65], v[122:123]
	v_fma_f64 v[134:135], v[124:125], s[4:5], v[48:49]
	ds_write2_b64 v193, v[14:15], v[132:133] offset1:1
	v_fma_f64 v[14:15], v[120:121], s[6:7], v[28:29]
	v_fma_f64 v[24:25], v[124:125], s[6:7], v[48:49]
	;; [unrolled: 1-line block ×4, first 2 shown]
	v_add_f64 v[8:9], v[56:57], v[36:37]
	ds_write_b64 v181, v[12:13] offset:16
	v_fma_f64 v[10:11], v[10:11], -0.5, v[36:37]
	v_add_f64 v[12:13], v[58:59], -v[102:103]
	v_add_f64 v[6:7], v[52:53], v[6:7]
	v_add_u32_e32 v194, 0x2ee0, v181
	ds_write2_b64 v194, v[122:123], v[134:135] offset1:1
	ds_write_b64 v181, v[2:3] offset:3016
	ds_write_b64 v181, v[4:5] offset:6016
	;; [unrolled: 1-line block ×3, first 2 shown]
	v_add_f64 v[2:3], v[100:101], v[8:9]
	ds_write_b64 v181, v[24:25] offset:12016
	ds_write_b64 v181, v[6:7] offset:15000
	v_fma_f64 v[4:5], v[12:13], s[4:5], v[10:11]
	v_fma_f64 v[6:7], v[12:13], s[6:7], v[10:11]
	s_waitcnt vmcnt(2)
	v_add_f64 v[8:9], v[104:105], v[96:97]
	v_add_u32_e32 v195, 0x3aa0, v181
	ds_write2_b64 v195, v[28:29], v[0:1] offset1:1
	ds_write_b64 v181, v[2:3] offset:18000
	s_waitcnt vmcnt(1)
	v_add_f64 v[0:1], v[92:93], v[88:89]
	v_add_u32_e32 v196, 0x4658, v181
	s_waitcnt vmcnt(0)
	v_add_f64 v[10:11], v[84:85], v[80:81]
	v_add_f64 v[2:3], v[96:97], v[76:77]
	ds_write2_b64 v196, v[4:5], v[6:7] offset1:1
	v_fma_f64 v[4:5], v[8:9], -0.5, v[76:77]
	v_add_f64 v[6:7], v[98:99], -v[106:107]
	v_add_f64 v[8:9], v[88:89], v[68:69]
	v_fma_f64 v[0:1], v[0:1], -0.5, v[68:69]
	v_add_f64 v[12:13], v[90:91], -v[94:95]
	v_fma_f64 v[10:11], v[10:11], -0.5, v[72:73]
	v_add_f64 v[24:25], v[82:83], -v[86:87]
	v_add_f64 v[2:3], v[104:105], v[2:3]
	v_add_f64 v[14:15], v[80:81], v[72:73]
	v_fma_f64 v[28:29], v[6:7], s[4:5], v[4:5]
	v_add_u32_e32 v68, 0x5208, v181
	v_add_f64 v[8:9], v[92:93], v[8:9]
	v_fma_f64 v[36:37], v[12:13], s[4:5], v[0:1]
	v_fma_f64 v[0:1], v[12:13], s[6:7], v[0:1]
	;; [unrolled: 1-line block ×4, first 2 shown]
	v_add_f64 v[24:25], v[22:23], v[18:19]
	v_fma_f64 v[4:5], v[6:7], s[6:7], v[4:5]
	ds_write2_b64 v68, v[2:3], v[28:29] offset1:1
	v_add_f64 v[28:29], v[46:47], v[42:43]
	v_add_f64 v[6:7], v[84:85], v[14:15]
	v_add_u32_e32 v69, 0x5dc0, v181
	ds_write2_b64 v69, v[8:9], v[36:37] offset1:1
	ds_write_b64 v181, v[4:5] offset:21016
	ds_write_b64 v181, v[0:1] offset:24016
	;; [unrolled: 1-line block ×3, first 2 shown]
	v_add_f64 v[36:37], v[66:67], v[62:63]
	v_fma_f64 v[24:25], v[24:25], -0.5, v[160:161]
	v_add_f64 v[18:19], v[18:19], v[160:161]
	v_add_f64 v[16:17], v[16:17], -v[20:21]
	v_fma_f64 v[20:21], v[28:29], -0.5, v[30:31]
	v_add_f64 v[28:29], v[42:43], v[30:31]
	v_add_f64 v[30:31], v[40:41], -v[44:45]
	v_add_f64 v[40:41], v[62:63], v[50:51]
	v_fma_f64 v[36:37], v[36:37], -0.5, v[50:51]
	v_add_f64 v[42:43], v[60:61], -v[64:65]
	v_fma_f64 v[44:45], v[108:109], s[6:7], v[189:190]
	v_add_f64 v[18:19], v[22:23], v[18:19]
	v_fma_f64 v[22:23], v[16:17], s[6:7], v[24:25]
	v_add_f64 v[28:29], v[46:47], v[28:29]
	v_fma_f64 v[46:47], v[30:31], s[6:7], v[20:21]
	v_lshl_add_u32 v171, v170, 3, 0
	v_add_u32_e32 v72, 0x6980, v181
	v_add_u32_e32 v182, 0xc00, v171
	;; [unrolled: 1-line block ×4, first 2 shown]
	ds_write2_b64 v72, v[12:13], v[10:11] offset1:1
	s_load_dwordx2 s[2:3], s[2:3], 0x0
	s_waitcnt lgkmcnt(0)
	s_barrier
	v_add_u32_e32 v172, 0x1400, v171
	v_add_u32_e32 v175, 0x2c00, v171
	;; [unrolled: 1-line block ×11, first 2 shown]
	ds_read2_b64 v[8:11], v171 offset1:125
	ds_read2_b64 v[162:165], v172 offset0:110 offset1:235
	ds_read2_b64 v[156:159], v175 offset0:92 offset1:217
	;; [unrolled: 1-line block ×14, first 2 shown]
	s_waitcnt lgkmcnt(0)
	v_add_f64 v[40:41], v[66:67], v[40:41]
	v_fma_f64 v[48:49], v[42:43], s[6:7], v[36:37]
	s_barrier
	ds_write2_b64 v191, v[187:188], v[44:45] offset1:1
	v_add_f64 v[44:45], v[118:119], v[110:111]
	ds_write2_b64 v192, v[18:19], v[22:23] offset1:1
	ds_write2_b64 v193, v[28:29], v[46:47] offset1:1
	v_add_f64 v[18:19], v[114:115], v[118:119]
	v_add_f64 v[22:23], v[34:35], v[26:27]
	;; [unrolled: 1-line block ×4, first 2 shown]
	ds_write2_b64 v194, v[40:41], v[48:49] offset1:1
	v_add_f64 v[34:35], v[116:117], -v[112:113]
	v_add_f64 v[40:41], v[114:115], v[44:45]
	v_add_f64 v[44:45], v[58:59], v[38:39]
	v_fma_f64 v[18:19], v[18:19], -0.5, v[110:111]
	v_add_f64 v[22:23], v[54:55], v[22:23]
	v_fma_f64 v[38:39], v[46:47], -0.5, v[38:39]
	v_add_f64 v[46:47], v[106:107], v[98:99]
	v_add_f64 v[54:55], v[94:95], v[90:91]
	;; [unrolled: 1-line block ×3, first 2 shown]
	v_add_f64 v[32:33], v[32:33], -v[52:53]
	v_fma_f64 v[26:27], v[28:29], -0.5, v[26:27]
	v_add_f64 v[48:49], v[56:57], -v[100:101]
	v_add_f64 v[50:51], v[96:97], -v[104:105]
	v_fma_f64 v[60:61], v[34:35], s[6:7], v[18:19]
	v_fma_f64 v[46:47], v[46:47], -0.5, v[78:79]
	v_add_f64 v[62:63], v[88:89], -v[92:93]
	v_fma_f64 v[54:55], v[54:55], -0.5, v[70:71]
	v_add_f64 v[64:65], v[80:81], -v[84:85]
	v_fma_f64 v[58:59], v[58:59], -0.5, v[74:75]
	v_add_f64 v[28:29], v[98:99], v[78:79]
	v_add_f64 v[52:53], v[90:91], v[70:71]
	;; [unrolled: 1-line block ×3, first 2 shown]
	v_fma_f64 v[18:19], v[34:35], s[4:5], v[18:19]
	v_fma_f64 v[34:35], v[108:109], s[4:5], v[189:190]
	;; [unrolled: 1-line block ×7, first 2 shown]
	v_add_f64 v[44:45], v[102:103], v[44:45]
	ds_write2_b64 v181, v[40:41], v[60:61] offset1:1
	v_fma_f64 v[32:33], v[48:49], s[6:7], v[38:39]
	v_fma_f64 v[36:37], v[48:49], s[4:5], v[38:39]
	;; [unrolled: 1-line block ×6, first 2 shown]
	s_movk_i32 s4, 0xab
	v_add_f64 v[28:29], v[106:107], v[28:29]
	v_add_f64 v[52:53], v[94:95], v[52:53]
	;; [unrolled: 1-line block ×3, first 2 shown]
	v_fma_f64 v[42:43], v[62:63], s[6:7], v[54:55]
	v_fma_f64 v[48:49], v[64:65], s[6:7], v[58:59]
	ds_write_b64 v181, v[18:19] offset:16
	ds_write_b64 v181, v[34:35] offset:3016
	;; [unrolled: 1-line block ×6, first 2 shown]
	ds_write2_b64 v195, v[30:31], v[26:27] offset1:1
	ds_write_b64 v181, v[44:45] offset:18000
	ds_write2_b64 v196, v[32:33], v[36:37] offset1:1
	ds_write2_b64 v68, v[28:29], v[38:39] offset1:1
	ds_write_b64 v181, v[40:41] offset:21016
	ds_write2_b64 v69, v[52:53], v[42:43] offset1:1
	ds_write_b64 v181, v[46:47] offset:24016
	ds_write_b64 v181, v[56:57] offset:27000
	ds_write2_b64 v72, v[48:49], v[50:51] offset1:1
	v_mul_lo_u16_sdwa v16, v170, s4 dst_sel:DWORD dst_unused:UNUSED_PAD src0_sel:BYTE_0 src1_sel:DWORD
	v_lshrrev_b16_e32 v33, 9, v16
	v_mul_lo_u16_e32 v16, 3, v33
	v_sub_u16_e32 v32, v170, v16
	v_mov_b32_e32 v191, 6
	v_add_u32_e32 v181, 0x7d, v170
	v_lshlrev_b32_sdwa v24, v191, v32 dst_sel:DWORD dst_unused:UNUSED_PAD src0_sel:DWORD src1_sel:BYTE_0
	v_mul_lo_u16_sdwa v16, v181, s4 dst_sel:DWORD dst_unused:UNUSED_PAD src0_sel:BYTE_0 src1_sel:DWORD
	s_waitcnt lgkmcnt(0)
	s_barrier
	v_lshrrev_b16_e32 v30, 9, v16
	global_load_dwordx4 v[16:19], v24, s[12:13]
	v_mul_lo_u16_e32 v20, 3, v30
	v_sub_u16_e32 v31, v181, v20
	v_lshlrev_b32_sdwa v25, v191, v31 dst_sel:DWORD dst_unused:UNUSED_PAD src0_sel:DWORD src1_sel:BYTE_0
	global_load_dwordx4 v[20:23], v25, s[12:13]
	global_load_dwordx4 v[26:29], v24, s[12:13] offset:16
	global_load_dwordx4 v[42:45], v25, s[12:13] offset:16
	;; [unrolled: 1-line block ×6, first 2 shown]
	v_add_u32_e32 v187, 0xfa, v170
	s_mov_b32 s4, 0xaaab
	v_mul_u32_u24_sdwa v24, v187, s4 dst_sel:DWORD dst_unused:UNUSED_PAD src0_sel:WORD_0 src1_sel:DWORD
	v_lshrrev_b32_e32 v37, 17, v24
	v_mul_lo_u16_e32 v24, 3, v37
	v_add_u32_e32 v188, 0x177, v170
	v_sub_u16_e32 v34, v187, v24
	v_mul_u32_u24_sdwa v25, v188, s4 dst_sel:DWORD dst_unused:UNUSED_PAD src0_sel:WORD_0 src1_sel:DWORD
	v_lshlrev_b32_e32 v24, 6, v34
	v_lshrrev_b32_e32 v39, 17, v25
	v_mul_lo_u16_e32 v25, 3, v39
	global_load_dwordx4 v[62:65], v24, s[12:13]
	v_sub_u16_e32 v38, v188, v25
	v_lshlrev_b32_e32 v25, 6, v38
	global_load_dwordx4 v[66:69], v25, s[12:13]
	global_load_dwordx4 v[70:73], v24, s[12:13] offset:16
	global_load_dwordx4 v[74:77], v25, s[12:13] offset:16
	;; [unrolled: 1-line block ×4, first 2 shown]
	v_add_u32_e32 v189, 0x1f4, v170
	ds_read2_b64 v[86:89], v172 offset0:110 offset1:235
	global_load_dwordx4 v[92:95], v24, s[12:13] offset:48
	global_load_dwordx4 v[192:195], v25, s[12:13] offset:48
	v_mul_u32_u24_sdwa v24, v189, s4 dst_sel:DWORD dst_unused:UNUSED_PAD src0_sel:WORD_0 src1_sel:DWORD
	v_lshrrev_b32_e32 v41, 17, v24
	v_mul_lo_u16_e32 v24, 3, v41
	v_add_u32_e32 v190, 0x271, v170
	v_sub_u16_e32 v40, v189, v24
	v_mul_u32_u24_sdwa v24, v190, s4 dst_sel:DWORD dst_unused:UNUSED_PAD src0_sel:WORD_0 src1_sel:DWORD
	v_lshrrev_b32_e32 v35, 17, v24
	v_mul_lo_u16_e32 v24, 3, v35
	v_sub_u16_e32 v36, v190, v24
	v_lshlrev_b32_e32 v104, 6, v40
	v_lshlrev_b32_e32 v105, 6, v36
	global_load_dwordx4 v[196:199], v104, s[12:13]
	global_load_dwordx4 v[204:207], v104, s[12:13] offset:16
	global_load_dwordx4 v[200:203], v105, s[12:13]
	global_load_dwordx4 v[208:211], v105, s[12:13] offset:16
	global_load_dwordx4 v[212:215], v104, s[12:13] offset:32
	;; [unrolled: 1-line block ×5, first 2 shown]
	ds_read2_b64 v[96:99], v175 offset0:92 offset1:217
	s_mov_b32 s4, 0x134454ff
	s_mov_b32 s5, 0xbfee6f0e
	;; [unrolled: 1-line block ×5, first 2 shown]
	v_mul_u32_u24_e32 v33, 0x78, v33
	s_mov_b32 s9, 0xbfe2cf23
	s_mov_b32 s17, 0x3fe2cf23
	;; [unrolled: 1-line block ×5, first 2 shown]
	v_mul_u32_u24_e32 v37, 0x78, v37
	v_lshlrev_b32_e32 v34, 3, v34
	s_movk_i32 s18, 0x89
	s_mov_b32 s21, 0xbfd3c6ef
	s_mov_b32 s20, s6
	;; [unrolled: 1-line block ×3, first 2 shown]
	s_waitcnt vmcnt(22)
	v_mul_f64 v[100:101], v[164:165], v[22:23]
	s_waitcnt lgkmcnt(1)
	v_mul_f64 v[90:91], v[88:89], v[22:23]
	v_mul_f64 v[24:25], v[86:87], v[18:19]
	;; [unrolled: 1-line block ×3, first 2 shown]
	v_fma_f64 v[114:115], v[88:89], v[20:21], -v[100:101]
	v_fma_f64 v[160:161], v[164:165], v[20:21], v[90:91]
	v_fma_f64 v[22:23], v[162:163], v[16:17], v[24:25]
	v_fma_f64 v[16:17], v[86:87], v[16:17], -v[18:19]
	s_waitcnt vmcnt(21) lgkmcnt(0)
	v_mul_f64 v[18:19], v[96:97], v[28:29]
	v_mul_f64 v[28:29], v[156:157], v[28:29]
	ds_read2_b64 v[86:89], v173 offset0:74 offset1:199
	s_waitcnt vmcnt(20)
	v_mul_f64 v[20:21], v[98:99], v[44:45]
	ds_read2_b64 v[100:103], v174 offset0:56 offset1:181
	v_mov_b32_e32 v164, 3
	v_lshlrev_b32_sdwa v32, v164, v32 dst_sel:DWORD dst_unused:UNUSED_PAD src0_sel:DWORD src1_sel:BYTE_0
	v_add3_u32 v165, 0, v33, v32
	v_fma_f64 v[24:25], v[156:157], v[26:27], v[18:19]
	v_fma_f64 v[18:19], v[96:97], v[26:27], -v[28:29]
	v_mul_f64 v[26:27], v[158:159], v[44:45]
	s_waitcnt vmcnt(19) lgkmcnt(1)
	v_mul_f64 v[28:29], v[86:87], v[48:49]
	v_mul_f64 v[44:45], v[152:153], v[48:49]
	s_waitcnt vmcnt(18)
	v_mul_f64 v[48:49], v[88:89], v[52:53]
	v_mul_f64 v[52:53], v[154:155], v[52:53]
	v_fma_f64 v[158:159], v[158:159], v[42:43], v[20:21]
	s_waitcnt vmcnt(17) lgkmcnt(0)
	v_mul_f64 v[90:91], v[100:101], v[56:57]
	v_fma_f64 v[156:157], v[98:99], v[42:43], -v[26:27]
	v_fma_f64 v[26:27], v[152:153], v[46:47], v[28:29]
	v_fma_f64 v[20:21], v[86:87], v[46:47], -v[44:45]
	v_fma_f64 v[154:155], v[154:155], v[50:51], v[48:49]
	v_fma_f64 v[152:153], v[88:89], v[50:51], -v[52:53]
	v_mul_f64 v[50:51], v[148:149], v[56:57]
	ds_read2_b64 v[42:45], v177 offset0:104 offset1:229
	ds_read2_b64 v[46:49], v180 offset0:86 offset1:211
	s_waitcnt vmcnt(16)
	v_mul_f64 v[52:53], v[102:103], v[60:61]
	v_mul_f64 v[56:57], v[150:151], v[60:61]
	v_fma_f64 v[28:29], v[148:149], v[54:55], v[90:91]
	s_waitcnt vmcnt(15) lgkmcnt(1)
	v_mul_f64 v[60:61], v[42:43], v[64:65]
	v_mul_f64 v[64:65], v[144:145], v[64:65]
	s_waitcnt vmcnt(14)
	v_mul_f64 v[86:87], v[44:45], v[68:69]
	v_mul_f64 v[68:69], v[146:147], v[68:69]
	v_fma_f64 v[162:163], v[100:101], v[54:55], -v[50:51]
	s_waitcnt vmcnt(13) lgkmcnt(0)
	v_mul_f64 v[50:51], v[46:47], v[72:73]
	v_mul_f64 v[54:55], v[128:129], v[72:73]
	v_fma_f64 v[150:151], v[150:151], v[58:59], v[52:53]
	v_fma_f64 v[118:119], v[144:145], v[62:63], v[60:61]
	v_fma_f64 v[112:113], v[42:43], v[62:63], -v[64:65]
	v_fma_f64 v[148:149], v[102:103], v[58:59], -v[56:57]
	v_fma_f64 v[90:91], v[44:45], v[66:67], -v[68:69]
	ds_read2_b64 v[42:45], v178 offset0:68 offset1:193
	v_fma_f64 v[144:145], v[128:129], v[70:71], v[50:51]
	ds_read2_b64 v[50:53], v179 offset0:50 offset1:175
	v_fma_f64 v[98:99], v[146:147], v[66:67], v[86:87]
	s_waitcnt vmcnt(12)
	v_mul_f64 v[56:57], v[48:49], v[76:77]
	v_mul_f64 v[58:59], v[130:131], v[76:77]
	s_waitcnt vmcnt(11)
	v_mul_f64 v[62:63], v[124:125], v[80:81]
	s_waitcnt vmcnt(10) lgkmcnt(1)
	v_mul_f64 v[64:65], v[44:45], v[84:85]
	v_mul_f64 v[66:67], v[126:127], v[84:85]
	v_fma_f64 v[116:117], v[46:47], v[70:71], -v[54:55]
	s_waitcnt vmcnt(9) lgkmcnt(0)
	v_mul_f64 v[46:47], v[50:51], v[94:95]
	v_mul_f64 v[54:55], v[120:121], v[94:95]
	;; [unrolled: 1-line block ×3, first 2 shown]
	v_fma_f64 v[102:103], v[130:131], v[74:75], v[56:57]
	v_fma_f64 v[100:101], v[48:49], v[74:75], -v[58:59]
	v_fma_f64 v[108:109], v[42:43], v[78:79], -v[62:63]
	v_fma_f64 v[104:105], v[126:127], v[82:83], v[64:65]
	v_fma_f64 v[96:97], v[44:45], v[82:83], -v[66:67]
	v_fma_f64 v[126:127], v[120:121], v[92:93], v[46:47]
	s_waitcnt vmcnt(8)
	v_mul_f64 v[56:57], v[52:53], v[194:195]
	v_mul_f64 v[58:59], v[122:123], v[194:195]
	s_waitcnt vmcnt(7)
	v_mul_f64 v[62:63], v[136:137], v[198:199]
	s_waitcnt vmcnt(5)
	v_mul_f64 v[66:67], v[138:139], v[202:203]
	ds_read2_b64 v[46:49], v184 offset0:80 offset1:205
	ds_read2_b64 v[42:45], v183 offset0:98 offset1:223
	v_fma_f64 v[110:111], v[50:51], v[92:93], -v[54:55]
	v_fma_f64 v[124:125], v[124:125], v[78:79], v[60:61]
	v_fma_f64 v[106:107], v[122:123], v[192:193], v[56:57]
	s_waitcnt lgkmcnt(1)
	v_mul_f64 v[50:51], v[46:47], v[206:207]
	s_waitcnt lgkmcnt(0)
	v_mul_f64 v[60:61], v[42:43], v[198:199]
	v_mul_f64 v[64:65], v[44:45], v[202:203]
	v_fma_f64 v[92:93], v[52:53], v[192:193], -v[58:59]
	v_fma_f64 v[80:81], v[42:43], v[196:197], -v[62:63]
	;; [unrolled: 1-line block ×3, first 2 shown]
	ds_read2_b64 v[42:45], v185 offset0:62 offset1:187
	v_mul_f64 v[52:53], v[140:141], v[206:207]
	s_waitcnt vmcnt(4)
	v_mul_f64 v[56:57], v[142:143], v[210:211]
	v_fma_f64 v[86:87], v[140:141], v[204:205], v[50:51]
	s_waitcnt vmcnt(3)
	v_mul_f64 v[58:59], v[132:133], v[214:215]
	s_waitcnt lgkmcnt(0)
	v_mul_f64 v[50:51], v[42:43], v[214:215]
	v_mul_f64 v[54:55], v[48:49], v[210:211]
	s_waitcnt vmcnt(1)
	v_mul_f64 v[62:63], v[134:135], v[218:219]
	v_fma_f64 v[84:85], v[136:137], v[196:197], v[60:61]
	v_fma_f64 v[88:89], v[46:47], v[204:205], -v[52:53]
	v_fma_f64 v[74:75], v[48:49], v[208:209], -v[56:57]
	ds_read2_b64 v[46:49], v186 offset0:44 offset1:169
	v_fma_f64 v[82:83], v[42:43], v[212:213], -v[58:59]
	v_fma_f64 v[94:95], v[132:133], v[212:213], v[50:51]
	v_add_f64 v[50:51], v[24:25], v[26:27]
	v_mul_f64 v[60:61], v[44:45], v[218:219]
	s_waitcnt lgkmcnt(0)
	v_mul_f64 v[42:43], v[46:47], v[222:223]
	v_fma_f64 v[76:77], v[142:143], v[208:209], v[54:55]
	v_fma_f64 v[70:71], v[44:45], v[216:217], -v[62:63]
	v_mul_f64 v[44:45], v[12:13], v[222:223]
	s_waitcnt vmcnt(0)
	v_mul_f64 v[54:55], v[14:15], v[226:227]
	v_mul_f64 v[52:53], v[48:49], v[226:227]
	v_add_f64 v[58:59], v[8:9], v[22:23]
	v_fma_f64 v[78:79], v[134:135], v[216:217], v[60:61]
	v_fma_f64 v[130:131], v[12:13], v[220:221], v[42:43]
	v_fma_f64 v[12:13], v[50:51], -0.5, v[8:9]
	v_add_f64 v[42:43], v[16:17], -v[162:163]
	v_add_f64 v[50:51], v[22:23], v[28:29]
	v_fma_f64 v[128:129], v[46:47], v[220:221], -v[44:45]
	v_fma_f64 v[120:121], v[48:49], v[224:225], -v[54:55]
	v_add_f64 v[48:49], v[18:19], -v[20:21]
	v_add_f64 v[56:57], v[22:23], -v[24:25]
	;; [unrolled: 1-line block ×3, first 2 shown]
	v_fma_f64 v[122:123], v[14:15], v[224:225], v[52:53]
	v_fma_f64 v[46:47], v[42:43], s[4:5], v[12:13]
	v_fma_f64 v[8:9], v[50:51], -0.5, v[8:9]
	v_fma_f64 v[12:13], v[42:43], s[14:15], v[12:13]
	v_add_f64 v[14:15], v[58:59], v[24:25]
	v_add_f64 v[50:51], v[26:27], -v[28:29]
	v_fma_f64 v[72:73], v[138:139], v[200:201], v[64:65]
	v_add_f64 v[44:45], v[56:57], v[60:61]
	ds_read2_b64 v[134:137], v171 offset1:125
	ds_read2_b64 v[64:67], v176 offset0:122 offset1:247
	ds_read2_b64 v[60:63], v182 offset0:116 offset1:241
	v_fma_f64 v[32:33], v[48:49], s[8:9], v[46:47]
	v_add_f64 v[46:47], v[24:25], -v[22:23]
	v_fma_f64 v[52:53], v[48:49], s[14:15], v[8:9]
	v_fma_f64 v[8:9], v[48:49], s[4:5], v[8:9]
	;; [unrolled: 1-line block ×3, first 2 shown]
	v_add_f64 v[48:49], v[10:11], v[160:161]
	v_add_f64 v[14:15], v[14:15], v[26:27]
	s_waitcnt lgkmcnt(0)
	v_fma_f64 v[32:33], v[44:45], s[6:7], v[32:33]
	v_add_f64 v[46:47], v[46:47], v[50:51]
	v_fma_f64 v[50:51], v[42:43], s[8:9], v[52:53]
	v_add_f64 v[52:53], v[158:159], v[154:155]
	v_fma_f64 v[8:9], v[42:43], s[16:17], v[8:9]
	v_fma_f64 v[12:13], v[44:45], s[6:7], v[12:13]
	v_add_f64 v[44:45], v[48:49], v[158:159]
	v_add_f64 v[14:15], v[14:15], v[28:29]
	s_barrier
	v_fma_f64 v[42:43], v[46:47], s[6:7], v[50:51]
	v_fma_f64 v[50:51], v[52:53], -0.5, v[10:11]
	v_add_f64 v[52:53], v[114:115], -v[148:149]
	v_fma_f64 v[8:9], v[46:47], s[6:7], v[8:9]
	v_add_f64 v[46:47], v[160:161], v[150:151]
	ds_write_b64 v165, v[12:13] offset:96
	v_add_f64 v[12:13], v[44:45], v[154:155]
	v_mul_u32_u24_e32 v44, 0x78, v30
	v_lshlrev_b32_sdwa v45, v164, v31 dst_sel:DWORD dst_unused:UNUSED_PAD src0_sel:DWORD src1_sel:BYTE_0
	v_add_f64 v[54:55], v[160:161], -v[158:159]
	v_add_f64 v[56:57], v[150:151], -v[154:155]
	ds_write2_b64 v165, v[14:15], v[32:33] offset1:3
	v_fma_f64 v[14:15], v[52:53], s[4:5], v[50:51]
	v_add_f64 v[32:33], v[156:157], -v[152:153]
	ds_write2_b64 v165, v[42:43], v[8:9] offset0:6 offset1:9
	v_fma_f64 v[8:9], v[46:47], -0.5, v[10:11]
	v_add_f64 v[30:31], v[158:159], -v[160:161]
	v_add_f64 v[42:43], v[154:155], -v[150:151]
	v_add3_u32 v132, 0, v44, v45
	v_add_f64 v[44:45], v[144:145], v[124:125]
	v_fma_f64 v[48:49], v[52:53], s[14:15], v[50:51]
	v_add_f64 v[10:11], v[54:55], v[56:57]
	v_fma_f64 v[14:15], v[32:33], s[8:9], v[14:15]
	v_fma_f64 v[46:47], v[32:33], s[14:15], v[8:9]
	;; [unrolled: 1-line block ×3, first 2 shown]
	v_add_f64 v[30:31], v[30:31], v[42:43]
	v_add_f64 v[42:43], v[4:5], v[118:119]
	v_fma_f64 v[44:45], v[44:45], -0.5, v[4:5]
	v_add_f64 v[50:51], v[112:113], -v[110:111]
	v_fma_f64 v[32:33], v[32:33], s[16:17], v[48:49]
	v_add_f64 v[48:49], v[118:119], v[126:127]
	v_add_f64 v[12:13], v[12:13], v[150:151]
	v_fma_f64 v[14:15], v[10:11], s[6:7], v[14:15]
	v_fma_f64 v[46:47], v[52:53], s[8:9], v[46:47]
	v_fma_f64 v[8:9], v[52:53], s[16:17], v[8:9]
	v_add_f64 v[52:53], v[118:119], -v[144:145]
	v_add_f64 v[54:55], v[126:127], -v[124:125]
	v_add_f64 v[42:43], v[42:43], v[144:145]
	v_fma_f64 v[56:57], v[50:51], s[4:5], v[44:45]
	v_add_f64 v[58:59], v[116:117], -v[108:109]
	v_fma_f64 v[4:5], v[48:49], -0.5, v[4:5]
	ds_write2_b64 v132, v[12:13], v[14:15] offset1:3
	v_fma_f64 v[12:13], v[30:31], s[6:7], v[46:47]
	v_fma_f64 v[8:9], v[30:31], s[6:7], v[8:9]
	;; [unrolled: 1-line block ×3, first 2 shown]
	v_add_f64 v[14:15], v[52:53], v[54:55]
	v_add_f64 v[30:31], v[42:43], v[124:125]
	v_fma_f64 v[32:33], v[58:59], s[8:9], v[56:57]
	v_add_f64 v[42:43], v[144:145], -v[118:119]
	v_add_f64 v[46:47], v[124:125], -v[126:127]
	v_fma_f64 v[48:49], v[58:59], s[14:15], v[4:5]
	v_fma_f64 v[4:5], v[58:59], s[4:5], v[4:5]
	ds_write2_b64 v132, v[12:13], v[8:9] offset0:6 offset1:9
	ds_write_b64 v132, v[10:11] offset:96
	v_add3_u32 v206, 0, v37, v34
	v_add_f64 v[8:9], v[30:31], v[126:127]
	v_fma_f64 v[10:11], v[14:15], s[6:7], v[32:33]
	v_add_f64 v[32:33], v[102:103], v[104:105]
	v_add_f64 v[12:13], v[42:43], v[46:47]
	v_fma_f64 v[30:31], v[50:51], s[8:9], v[48:49]
	v_fma_f64 v[42:43], v[50:51], s[14:15], v[44:45]
	;; [unrolled: 1-line block ×3, first 2 shown]
	v_add_f64 v[44:45], v[98:99], v[106:107]
	v_add_f64 v[46:47], v[106:107], -v[104:105]
	ds_write2_b64 v206, v[8:9], v[10:11] offset1:3
	v_fma_f64 v[10:11], v[32:33], -0.5, v[6:7]
	v_add_f64 v[32:33], v[90:91], -v[92:93]
	v_fma_f64 v[8:9], v[12:13], s[6:7], v[30:31]
	v_add_f64 v[30:31], v[6:7], v[98:99]
	v_fma_f64 v[42:43], v[58:59], s[16:17], v[42:43]
	v_fma_f64 v[4:5], v[12:13], s[6:7], v[4:5]
	v_fma_f64 v[6:7], v[44:45], -0.5, v[6:7]
	v_add_f64 v[12:13], v[100:101], -v[96:97]
	v_add_f64 v[44:45], v[98:99], -v[102:103]
	v_fma_f64 v[48:49], v[32:33], s[4:5], v[10:11]
	v_add_f64 v[50:51], v[104:105], -v[106:107]
	v_add_f64 v[30:31], v[30:31], v[102:103]
	v_fma_f64 v[14:15], v[14:15], s[6:7], v[42:43]
	v_add_f64 v[42:43], v[102:103], -v[98:99]
	ds_write2_b64 v206, v[8:9], v[4:5] offset0:6 offset1:9
	ds_write_b64 v206, v[14:15] offset:96
	v_fma_f64 v[52:53], v[12:13], s[14:15], v[6:7]
	v_fma_f64 v[6:7], v[12:13], s[4:5], v[6:7]
	v_add_f64 v[44:45], v[44:45], v[46:47]
	v_add_f64 v[30:31], v[30:31], v[104:105]
	v_fma_f64 v[46:47], v[12:13], s[8:9], v[48:49]
	v_add_f64 v[4:5], v[42:43], v[50:51]
	v_fma_f64 v[10:11], v[32:33], s[14:15], v[10:11]
	v_mul_u32_u24_e32 v34, 0x78, v39
	v_fma_f64 v[8:9], v[32:33], s[8:9], v[52:53]
	v_fma_f64 v[6:7], v[32:33], s[16:17], v[6:7]
	v_add_f64 v[32:33], v[86:87], v[94:95]
	v_add_f64 v[14:15], v[30:31], v[106:107]
	v_fma_f64 v[30:31], v[44:45], s[6:7], v[46:47]
	v_lshlrev_b32_e32 v37, 3, v38
	v_add3_u32 v133, 0, v34, v37
	v_fma_f64 v[10:11], v[12:13], s[16:17], v[10:11]
	v_fma_f64 v[8:9], v[4:5], s[6:7], v[8:9]
	;; [unrolled: 1-line block ×3, first 2 shown]
	v_add_f64 v[6:7], v[84:85], v[130:131]
	v_add_f64 v[12:13], v[0:1], v[84:85]
	ds_write2_b64 v133, v[14:15], v[30:31] offset1:3
	v_fma_f64 v[14:15], v[32:33], -0.5, v[0:1]
	v_add_f64 v[30:31], v[80:81], -v[128:129]
	v_fma_f64 v[10:11], v[44:45], s[6:7], v[10:11]
	v_add_f64 v[37:38], v[86:87], -v[84:85]
	ds_write2_b64 v133, v[8:9], v[4:5] offset0:6 offset1:9
	v_add_f64 v[4:5], v[88:89], -v[82:83]
	v_fma_f64 v[0:1], v[6:7], -0.5, v[0:1]
	v_add_f64 v[6:7], v[84:85], -v[86:87]
	v_add_f64 v[8:9], v[130:131], -v[94:95]
	v_add_f64 v[12:13], v[12:13], v[86:87]
	v_fma_f64 v[32:33], v[30:31], s[4:5], v[14:15]
	v_add_f64 v[42:43], v[94:95], -v[130:131]
	ds_write_b64 v133, v[10:11] offset:96
	v_fma_f64 v[14:15], v[30:31], s[14:15], v[14:15]
	v_fma_f64 v[44:45], v[4:5], s[14:15], v[0:1]
	;; [unrolled: 1-line block ×3, first 2 shown]
	v_add_f64 v[6:7], v[6:7], v[8:9]
	v_add_f64 v[8:9], v[12:13], v[94:95]
	v_fma_f64 v[10:11], v[4:5], s[8:9], v[32:33]
	v_add_f64 v[12:13], v[37:38], v[42:43]
	v_mul_u32_u24_e32 v34, 0x78, v41
	v_fma_f64 v[4:5], v[4:5], s[16:17], v[14:15]
	v_fma_f64 v[32:33], v[30:31], s[8:9], v[44:45]
	;; [unrolled: 1-line block ×3, first 2 shown]
	v_add_f64 v[14:15], v[2:3], v[72:73]
	v_add_f64 v[8:9], v[8:9], v[130:131]
	v_fma_f64 v[10:11], v[6:7], s[6:7], v[10:11]
	v_lshlrev_b32_e32 v37, 3, v40
	v_add3_u32 v207, 0, v34, v37
	v_add_f64 v[30:31], v[76:77], v[78:79]
	v_fma_f64 v[32:33], v[12:13], s[6:7], v[32:33]
	v_fma_f64 v[0:1], v[12:13], s[6:7], v[0:1]
	ds_write2_b64 v207, v[8:9], v[10:11] offset1:3
	ds_write2_b64 v207, v[32:33], v[0:1] offset0:6 offset1:9
	v_fma_f64 v[0:1], v[6:7], s[6:7], v[4:5]
	v_add_f64 v[4:5], v[14:15], v[76:77]
	v_fma_f64 v[12:13], v[30:31], -0.5, v[2:3]
	v_add_f64 v[30:31], v[72:73], v[122:123]
	v_add_f64 v[41:42], v[68:69], -v[120:121]
	v_add_f64 v[6:7], v[74:75], -v[70:71]
	;; [unrolled: 1-line block ×4, first 2 shown]
	ds_write_b64 v207, v[0:1] offset:96
	v_add_f64 v[0:1], v[4:5], v[78:79]
	v_add_f64 v[4:5], v[18:19], v[20:21]
	v_fma_f64 v[2:3], v[30:31], -0.5, v[2:3]
	v_fma_f64 v[10:11], v[41:42], s[4:5], v[12:13]
	v_fma_f64 v[12:13], v[41:42], s[14:15], v[12:13]
	v_add_f64 v[39:40], v[122:123], -v[78:79]
	v_add_f64 v[22:23], v[134:135], v[16:17]
	v_add_f64 v[142:143], v[24:25], -v[26:27]
	v_add_f64 v[24:25], v[162:163], -v[20:21]
	v_fma_f64 v[140:141], v[4:5], -0.5, v[134:135]
	v_fma_f64 v[32:33], v[6:7], s[14:15], v[2:3]
	v_fma_f64 v[2:3], v[6:7], s[4:5], v[2:3]
	;; [unrolled: 1-line block ×4, first 2 shown]
	v_add_f64 v[12:13], v[16:17], -v[18:19]
	v_add_f64 v[8:9], v[37:38], v[39:40]
	v_add_f64 v[22:23], v[22:23], v[18:19]
	v_fma_f64 v[26:27], v[138:139], s[14:15], v[140:141]
	v_add_f64 v[198:199], v[156:157], v[152:153]
	v_add_f64 v[196:197], v[18:19], -v[16:17]
	v_add_f64 v[200:201], v[136:137], v[114:115]
	v_add_f64 v[150:151], v[160:161], -v[150:151]
	v_add_f64 v[146:147], v[12:13], v[24:25]
	v_fma_f64 v[10:11], v[8:9], s[6:7], v[10:11]
	v_fma_f64 v[6:7], v[8:9], s[6:7], v[6:7]
	;; [unrolled: 1-line block ×3, first 2 shown]
	v_add_f64 v[8:9], v[22:23], v[20:21]
	v_fma_f64 v[198:199], v[198:199], -0.5, v[136:137]
	v_add_f64 v[14:15], v[76:77], -v[72:73]
	v_add_f64 v[30:31], v[78:79], -v[122:123]
	v_fma_f64 v[140:141], v[138:139], s[4:5], v[140:141]
	v_add_f64 v[154:155], v[158:159], -v[154:155]
	v_add_f64 v[158:159], v[114:115], -v[156:157]
	v_fma_f64 v[194:195], v[146:147], s[6:7], v[12:13]
	v_add_f64 v[12:13], v[16:17], v[162:163]
	v_add_f64 v[192:193], v[8:9], v[162:163]
	v_add_f64 v[162:163], v[20:21], -v[162:163]
	v_add_f64 v[200:201], v[200:201], v[156:157]
	v_add_f64 v[202:203], v[148:149], -v[152:153]
	v_fma_f64 v[204:205], v[150:151], s[14:15], v[198:199]
	v_add_f64 v[160:161], v[114:115], v[148:149]
	v_add_f64 v[14:15], v[14:15], v[30:31]
	v_fma_f64 v[134:135], v[12:13], -0.5, v[134:135]
	v_fma_f64 v[4:5], v[41:42], s[8:9], v[32:33]
	v_add_f64 v[162:163], v[196:197], v[162:163]
	v_fma_f64 v[2:3], v[41:42], s[16:17], v[2:3]
	v_add_f64 v[0:1], v[0:1], v[122:123]
	v_add_f64 v[114:115], v[156:157], -v[114:115]
	v_fma_f64 v[136:137], v[160:161], -0.5, v[136:137]
	v_add_f64 v[118:119], v[118:119], -v[126:127]
	v_fma_f64 v[196:197], v[142:143], s[4:5], v[134:135]
	v_fma_f64 v[134:135], v[142:143], s[14:15], v[134:135]
	v_fma_f64 v[4:5], v[14:15], s[6:7], v[4:5]
	v_fma_f64 v[2:3], v[14:15], s[6:7], v[2:3]
	v_mul_u32_u24_e32 v14, 0x78, v35
	v_lshlrev_b32_e32 v15, 3, v36
	v_add3_u32 v208, 0, v14, v15
	ds_write2_b64 v208, v[0:1], v[10:11] offset1:3
	ds_write2_b64 v208, v[4:5], v[2:3] offset0:6 offset1:9
	ds_write_b64 v208, v[6:7] offset:96
	v_fma_f64 v[196:197], v[138:139], s[16:17], v[196:197]
	v_fma_f64 v[134:135], v[138:139], s[8:9], v[134:135]
	;; [unrolled: 1-line block ×3, first 2 shown]
	v_add_f64 v[140:141], v[200:201], v[152:153]
	v_add_f64 v[142:143], v[158:159], v[202:203]
	v_fma_f64 v[158:159], v[154:155], s[16:17], v[204:205]
	s_waitcnt lgkmcnt(0)
	s_barrier
	v_fma_f64 v[160:161], v[162:163], s[6:7], v[196:197]
	v_fma_f64 v[134:135], v[162:163], s[6:7], v[134:135]
	;; [unrolled: 1-line block ×3, first 2 shown]
	v_add_f64 v[146:147], v[152:153], -v[148:149]
	v_add_f64 v[140:141], v[140:141], v[148:149]
	v_fma_f64 v[152:153], v[142:143], s[6:7], v[158:159]
	ds_read2_b64 v[8:11], v171 offset1:125
	ds_read2_b64 v[56:59], v172 offset0:110 offset1:235
	ds_read2_b64 v[52:55], v175 offset0:92 offset1:217
	;; [unrolled: 1-line block ×14, first 2 shown]
	s_waitcnt lgkmcnt(0)
	s_barrier
	v_fma_f64 v[148:149], v[154:155], s[4:5], v[136:137]
	ds_write2_b64 v165, v[192:193], v[194:195] offset1:3
	ds_write2_b64 v165, v[160:161], v[134:135] offset0:6 offset1:9
	v_fma_f64 v[134:135], v[154:155], s[14:15], v[136:137]
	v_add_f64 v[136:137], v[116:117], v[108:109]
	ds_write_b64 v165, v[138:139] offset:96
	ds_write2_b64 v132, v[140:141], v[152:153] offset1:3
	v_add_f64 v[140:141], v[112:113], v[110:111]
	v_add_f64 v[114:115], v[114:115], v[146:147]
	v_fma_f64 v[146:147], v[150:151], s[4:5], v[198:199]
	v_add_f64 v[126:127], v[64:65], v[112:113]
	v_add_f64 v[124:125], v[144:145], -v[124:125]
	v_fma_f64 v[136:137], v[136:137], -0.5, v[64:65]
	v_fma_f64 v[138:139], v[150:151], s[16:17], v[148:149]
	v_add_f64 v[144:145], v[112:113], -v[116:117]
	v_fma_f64 v[64:65], v[140:141], -0.5, v[64:65]
	v_fma_f64 v[134:135], v[150:151], s[8:9], v[134:135]
	v_fma_f64 v[140:141], v[154:155], s[8:9], v[146:147]
	v_add_f64 v[146:147], v[110:111], -v[108:109]
	v_add_f64 v[126:127], v[126:127], v[116:117]
	v_fma_f64 v[148:149], v[118:119], s[14:15], v[136:137]
	v_add_f64 v[112:113], v[116:117], -v[112:113]
	v_add_f64 v[116:117], v[108:109], -v[110:111]
	v_fma_f64 v[150:151], v[124:125], s[4:5], v[64:65]
	v_fma_f64 v[64:65], v[124:125], s[14:15], v[64:65]
	;; [unrolled: 1-line block ×3, first 2 shown]
	v_add_f64 v[144:145], v[144:145], v[146:147]
	v_add_f64 v[108:109], v[126:127], v[108:109]
	v_fma_f64 v[126:127], v[124:125], s[16:17], v[148:149]
	v_fma_f64 v[138:139], v[114:115], s[6:7], v[138:139]
	;; [unrolled: 1-line block ×3, first 2 shown]
	v_add_f64 v[112:113], v[112:113], v[116:117]
	v_fma_f64 v[116:117], v[118:119], s[16:17], v[150:151]
	v_fma_f64 v[64:65], v[118:119], s[8:9], v[64:65]
	;; [unrolled: 1-line block ×4, first 2 shown]
	v_add_f64 v[108:109], v[108:109], v[110:111]
	v_fma_f64 v[110:111], v[144:145], s[6:7], v[126:127]
	ds_write2_b64 v132, v[138:139], v[114:115] offset0:6 offset1:9
	v_add_f64 v[114:115], v[100:101], v[96:97]
	v_fma_f64 v[116:117], v[112:113], s[6:7], v[116:117]
	v_fma_f64 v[64:65], v[112:113], s[6:7], v[64:65]
	;; [unrolled: 1-line block ×3, first 2 shown]
	v_add_f64 v[118:119], v[90:91], v[92:93]
	ds_write_b64 v132, v[124:125] offset:96
	ds_write2_b64 v206, v[108:109], v[110:111] offset1:3
	v_add_f64 v[108:109], v[66:67], v[90:91]
	v_add_f64 v[98:99], v[98:99], -v[106:107]
	v_fma_f64 v[110:111], v[114:115], -0.5, v[66:67]
	ds_write2_b64 v206, v[116:117], v[64:65] offset0:6 offset1:9
	ds_write_b64 v206, v[112:113] offset:96
	v_add_f64 v[106:107], v[92:93], -v[96:97]
	v_fma_f64 v[64:65], v[118:119], -0.5, v[66:67]
	v_add_f64 v[66:67], v[102:103], -v[104:105]
	v_add_f64 v[104:105], v[108:109], v[100:101]
	v_add_f64 v[102:103], v[90:91], -v[100:101]
	v_fma_f64 v[108:109], v[98:99], s[14:15], v[110:111]
	v_fma_f64 v[110:111], v[98:99], s[4:5], v[110:111]
	v_add_f64 v[90:91], v[100:101], -v[90:91]
	v_add_f64 v[100:101], v[96:97], -v[92:93]
	;; [unrolled: 1-line block ×3, first 2 shown]
	v_fma_f64 v[112:113], v[66:67], s[4:5], v[64:65]
	v_add_f64 v[96:97], v[104:105], v[96:97]
	v_fma_f64 v[64:65], v[66:67], s[14:15], v[64:65]
	v_add_f64 v[102:103], v[102:103], v[106:107]
	v_fma_f64 v[104:105], v[66:67], s[16:17], v[108:109]
	v_fma_f64 v[66:67], v[66:67], s[8:9], v[110:111]
	v_add_f64 v[106:107], v[60:61], v[80:81]
	v_add_f64 v[90:91], v[90:91], v[100:101]
	v_fma_f64 v[100:101], v[98:99], s[16:17], v[112:113]
	v_add_f64 v[92:93], v[96:97], v[92:93]
	v_add_f64 v[96:97], v[88:89], v[82:83]
	v_fma_f64 v[64:65], v[98:99], s[8:9], v[64:65]
	v_fma_f64 v[98:99], v[102:103], s[6:7], v[104:105]
	;; [unrolled: 1-line block ×3, first 2 shown]
	v_add_f64 v[102:103], v[106:107], v[88:89]
	v_add_f64 v[106:107], v[80:81], v[128:129]
	v_add_f64 v[104:105], v[80:81], -v[88:89]
	v_add_f64 v[108:109], v[128:129], -v[82:83]
	v_fma_f64 v[96:97], v[96:97], -0.5, v[60:61]
	v_fma_f64 v[100:101], v[90:91], s[6:7], v[100:101]
	v_fma_f64 v[64:65], v[90:91], s[6:7], v[64:65]
	v_add_f64 v[86:87], v[86:87], -v[94:95]
	v_add_f64 v[90:91], v[102:103], v[82:83]
	v_fma_f64 v[60:61], v[106:107], -0.5, v[60:61]
	v_add_f64 v[80:81], v[88:89], -v[80:81]
	v_add_f64 v[102:103], v[74:75], v[70:71]
	v_fma_f64 v[88:89], v[84:85], s[14:15], v[96:97]
	v_fma_f64 v[96:97], v[84:85], s[4:5], v[96:97]
	v_add_f64 v[106:107], v[68:69], v[120:121]
	v_add_f64 v[94:95], v[104:105], v[108:109]
	v_add_f64 v[82:83], v[82:83], -v[128:129]
	v_fma_f64 v[104:105], v[86:87], s[4:5], v[60:61]
	v_fma_f64 v[60:61], v[86:87], s[14:15], v[60:61]
	v_add_f64 v[72:73], v[72:73], -v[122:123]
	v_fma_f64 v[88:89], v[86:87], s[16:17], v[88:89]
	v_fma_f64 v[86:87], v[86:87], s[8:9], v[96:97]
	v_fma_f64 v[96:97], v[102:103], -0.5, v[62:63]
	v_add_f64 v[102:103], v[62:63], v[68:69]
	v_fma_f64 v[62:63], v[106:107], -0.5, v[62:63]
	v_add_f64 v[76:77], v[76:77], -v[78:79]
	v_add_f64 v[80:81], v[80:81], v[82:83]
	v_fma_f64 v[82:83], v[84:85], s[16:17], v[104:105]
	v_add_f64 v[78:79], v[68:69], -v[74:75]
	v_add_f64 v[104:105], v[120:121], -v[70:71]
	v_fma_f64 v[106:107], v[72:73], s[14:15], v[96:97]
	v_add_f64 v[102:103], v[102:103], v[74:75]
	v_add_f64 v[68:69], v[74:75], -v[68:69]
	v_add_f64 v[74:75], v[70:71], -v[120:121]
	v_fma_f64 v[108:109], v[76:77], s[4:5], v[62:63]
	v_fma_f64 v[62:63], v[76:77], s[14:15], v[62:63]
	v_fma_f64 v[96:97], v[72:73], s[4:5], v[96:97]
	v_fma_f64 v[60:61], v[84:85], s[8:9], v[60:61]
	v_add_f64 v[78:79], v[78:79], v[104:105]
	v_fma_f64 v[84:85], v[76:77], s[16:17], v[106:107]
	v_add_f64 v[70:71], v[102:103], v[70:71]
	v_add_f64 v[68:69], v[68:69], v[74:75]
	v_fma_f64 v[74:75], v[72:73], s[16:17], v[108:109]
	v_fma_f64 v[62:63], v[72:73], s[8:9], v[62:63]
	;; [unrolled: 1-line block ×3, first 2 shown]
	v_add_f64 v[90:91], v[90:91], v[128:129]
	v_fma_f64 v[72:73], v[94:95], s[6:7], v[88:89]
	v_fma_f64 v[82:83], v[80:81], s[6:7], v[82:83]
	;; [unrolled: 1-line block ×4, first 2 shown]
	v_add_f64 v[70:71], v[70:71], v[120:121]
	v_fma_f64 v[80:81], v[78:79], s[6:7], v[84:85]
	v_fma_f64 v[74:75], v[68:69], s[6:7], v[74:75]
	;; [unrolled: 1-line block ×4, first 2 shown]
	ds_write2_b64 v133, v[92:93], v[98:99] offset1:3
	ds_write2_b64 v133, v[100:101], v[64:65] offset0:6 offset1:9
	ds_write_b64 v133, v[66:67] offset:96
	ds_write2_b64 v207, v[90:91], v[72:73] offset1:3
	ds_write2_b64 v207, v[82:83], v[60:61] offset0:6 offset1:9
	ds_write_b64 v207, v[86:87] offset:96
	;; [unrolled: 3-line block ×3, first 2 shown]
	v_mul_lo_u16_sdwa v60, v170, s18 dst_sel:DWORD dst_unused:UNUSED_PAD src0_sel:BYTE_0 src1_sel:DWORD
	v_lshrrev_b16_e32 v60, 11, v60
	v_mul_lo_u16_e32 v61, 15, v60
	v_sub_u16_e32 v61, v170, v61
	v_lshlrev_b32_sdwa v94, v191, v61 dst_sel:DWORD dst_unused:UNUSED_PAD src0_sel:DWORD src1_sel:BYTE_0
	s_waitcnt lgkmcnt(0)
	s_barrier
	global_load_dwordx4 v[62:65], v94, s[12:13] offset:192
	v_mul_lo_u16_sdwa v66, v181, s18 dst_sel:DWORD dst_unused:UNUSED_PAD src0_sel:BYTE_0 src1_sel:DWORD
	v_lshrrev_b16_e32 v156, 11, v66
	v_mul_lo_u16_e32 v66, 15, v156
	v_sub_u16_e32 v157, v181, v66
	v_lshlrev_b32_sdwa v95, v191, v157 dst_sel:DWORD dst_unused:UNUSED_PAD src0_sel:DWORD src1_sel:BYTE_0
	global_load_dwordx4 v[66:69], v95, s[12:13] offset:192
	global_load_dwordx4 v[70:73], v94, s[12:13] offset:208
	;; [unrolled: 1-line block ×7, first 2 shown]
	s_mov_b32 s18, 0x8889
	v_mul_u32_u24_sdwa v94, v187, s18 dst_sel:DWORD dst_unused:UNUSED_PAD src0_sel:WORD_0 src1_sel:DWORD
	v_lshrrev_b32_e32 v158, 19, v94
	v_mul_lo_u16_e32 v94, 15, v158
	v_sub_u16_e32 v161, v187, v94
	v_mul_u32_u24_sdwa v94, v188, s18 dst_sel:DWORD dst_unused:UNUSED_PAD src0_sel:WORD_0 src1_sel:DWORD
	v_lshrrev_b32_e32 v163, 19, v94
	v_lshlrev_b32_e32 v106, 6, v161
	v_mul_lo_u16_e32 v94, 15, v163
	v_sub_u16_e32 v162, v188, v94
	global_load_dwordx4 v[94:97], v106, s[12:13] offset:192
	v_lshlrev_b32_e32 v108, 6, v162
	global_load_dwordx4 v[98:101], v108, s[12:13] offset:192
	global_load_dwordx4 v[140:143], v106, s[12:13] offset:208
	;; [unrolled: 1-line block ×4, first 2 shown]
	ds_read2_b64 v[102:105], v172 offset0:110 offset1:235
	global_load_dwordx4 v[152:155], v108, s[12:13] offset:224
	global_load_dwordx4 v[192:195], v106, s[12:13] offset:240
	;; [unrolled: 1-line block ×3, first 2 shown]
	v_mul_u32_u24_sdwa v108, v189, s18 dst_sel:DWORD dst_unused:UNUSED_PAD src0_sel:WORD_0 src1_sel:DWORD
	v_lshrrev_b32_e32 v191, 19, v108
	v_mul_lo_u16_e32 v108, 15, v191
	v_sub_u16_e32 v165, v189, v108
	v_mul_u32_u24_sdwa v108, v190, s18 dst_sel:DWORD dst_unused:UNUSED_PAD src0_sel:WORD_0 src1_sel:DWORD
	v_lshrrev_b32_e32 v159, 19, v108
	v_mul_lo_u16_e32 v108, 15, v159
	v_sub_u16_e32 v160, v190, v108
	v_lshlrev_b32_e32 v116, 6, v165
	v_lshlrev_b32_e32 v117, 6, v160
	global_load_dwordx4 v[200:203], v116, s[12:13] offset:192
	global_load_dwordx4 v[208:211], v116, s[12:13] offset:208
	;; [unrolled: 1-line block ×7, first 2 shown]
	ds_read2_b64 v[108:111], v175 offset0:92 offset1:217
	s_movk_i32 s18, 0x4b
	v_cmp_gt_u32_e32 vcc, s18, v170
	s_movk_i32 s18, 0xdb
	s_waitcnt vmcnt(22) lgkmcnt(1)
	v_mul_f64 v[106:107], v[102:103], v[64:65]
	v_mul_f64 v[64:65], v[56:57], v[64:65]
	s_waitcnt vmcnt(21)
	v_mul_f64 v[112:113], v[104:105], v[68:69]
	v_mul_f64 v[68:69], v[58:59], v[68:69]
	v_fma_f64 v[56:57], v[56:57], v[62:63], v[106:107]
	v_fma_f64 v[126:127], v[102:103], v[62:63], -v[64:65]
	global_load_dwordx4 v[62:65], v117, s[12:13] offset:208
	v_fma_f64 v[114:115], v[58:59], v[66:67], v[112:113]
	s_waitcnt vmcnt(20) lgkmcnt(0)
	v_mul_f64 v[58:59], v[110:111], v[76:77]
	v_mul_f64 v[102:103], v[108:109], v[72:73]
	;; [unrolled: 1-line block ×3, first 2 shown]
	v_fma_f64 v[106:107], v[104:105], v[66:67], -v[68:69]
	ds_read2_b64 v[66:69], v173 offset0:74 offset1:199
	v_mul_f64 v[76:77], v[54:55], v[76:77]
	v_fma_f64 v[124:125], v[54:55], v[74:75], v[58:59]
	s_waitcnt vmcnt(19)
	v_mul_f64 v[54:55], v[48:49], v[80:81]
	v_fma_f64 v[52:53], v[52:53], v[70:71], v[102:103]
	v_fma_f64 v[132:133], v[108:109], v[70:71], -v[72:73]
	ds_read2_b64 v[70:73], v174 offset0:56 offset1:181
	s_waitcnt lgkmcnt(1)
	v_mul_f64 v[102:103], v[66:67], v[80:81]
	s_waitcnt vmcnt(18)
	v_mul_f64 v[80:81], v[50:51], v[84:85]
	v_mul_f64 v[58:59], v[68:69], v[84:85]
	v_fma_f64 v[118:119], v[110:111], v[74:75], -v[76:77]
	v_fma_f64 v[136:137], v[66:67], v[78:79], -v[54:55]
	s_waitcnt vmcnt(16) lgkmcnt(0)
	v_mul_f64 v[54:55], v[72:73], v[92:93]
	v_mul_f64 v[74:75], v[70:71], v[88:89]
	v_fma_f64 v[48:49], v[48:49], v[78:79], v[102:103]
	v_fma_f64 v[122:123], v[68:69], v[82:83], -v[80:81]
	ds_read2_b64 v[66:69], v177 offset0:104 offset1:229
	v_fma_f64 v[130:131], v[50:51], v[82:83], v[58:59]
	v_mul_f64 v[50:51], v[44:45], v[88:89]
	v_mul_f64 v[58:59], v[46:47], v[92:93]
	v_fma_f64 v[134:135], v[46:47], v[90:91], v[54:55]
	s_waitcnt vmcnt(14)
	v_mul_f64 v[46:47], v[38:39], v[100:101]
	v_fma_f64 v[44:45], v[44:45], v[86:87], v[74:75]
	s_waitcnt lgkmcnt(0)
	v_mul_f64 v[78:79], v[66:67], v[96:97]
	v_mul_f64 v[82:83], v[68:69], v[100:101]
	ds_read2_b64 v[74:77], v180 offset0:86 offset1:211
	v_mul_f64 v[80:81], v[36:37], v[96:97]
	v_fma_f64 v[138:139], v[70:71], v[86:87], -v[50:51]
	s_waitcnt vmcnt(13)
	v_mul_f64 v[54:55], v[40:41], v[142:143]
	v_fma_f64 v[86:87], v[68:69], v[98:99], -v[46:47]
	s_waitcnt lgkmcnt(0)
	v_mul_f64 v[50:51], v[74:75], v[142:143]
	s_waitcnt vmcnt(12)
	v_mul_f64 v[46:47], v[76:77], v[146:147]
	v_fma_f64 v[128:129], v[72:73], v[90:91], -v[58:59]
	v_fma_f64 v[110:111], v[36:37], v[94:95], v[78:79]
	v_fma_f64 v[90:91], v[38:39], v[98:99], v[82:83]
	ds_read2_b64 v[36:39], v178 offset0:68 offset1:193
	v_fma_f64 v[104:105], v[66:67], v[94:95], -v[80:81]
	ds_read2_b64 v[66:69], v179 offset0:50 offset1:175
	v_fma_f64 v[112:113], v[40:41], v[140:141], v[50:51]
	v_fma_f64 v[108:109], v[74:75], v[140:141], -v[54:55]
	s_waitcnt vmcnt(11) lgkmcnt(1)
	v_mul_f64 v[50:51], v[36:37], v[150:151]
	s_waitcnt vmcnt(10)
	v_mul_f64 v[54:55], v[38:39], v[154:155]
	v_mul_f64 v[58:59], v[32:33], v[150:151]
	v_fma_f64 v[94:95], v[42:43], v[144:145], v[46:47]
	s_waitcnt vmcnt(9) lgkmcnt(0)
	v_mul_f64 v[46:47], v[66:67], v[194:195]
	v_mul_f64 v[40:41], v[42:43], v[146:147]
	;; [unrolled: 1-line block ×3, first 2 shown]
	v_fma_f64 v[116:117], v[32:33], v[148:149], v[50:51]
	v_fma_f64 v[96:97], v[34:35], v[152:153], v[54:55]
	ds_read2_b64 v[32:35], v183 offset0:98 offset1:223
	v_fma_f64 v[100:101], v[36:37], v[148:149], -v[58:59]
	v_mul_f64 v[36:37], v[28:29], v[194:195]
	v_fma_f64 v[120:121], v[28:29], v[192:193], v[46:47]
	s_waitcnt vmcnt(8)
	v_mul_f64 v[28:29], v[68:69], v[198:199]
	v_fma_f64 v[88:89], v[38:39], v[152:153], -v[42:43]
	s_waitcnt vmcnt(7) lgkmcnt(0)
	v_mul_f64 v[42:43], v[32:33], v[202:203]
	s_waitcnt vmcnt(5)
	v_mul_f64 v[50:51], v[34:35], v[206:207]
	v_fma_f64 v[92:93], v[76:77], v[144:145], -v[40:41]
	v_mul_f64 v[40:41], v[30:31], v[198:199]
	v_mul_f64 v[46:47], v[24:25], v[202:203]
	;; [unrolled: 1-line block ×3, first 2 shown]
	v_fma_f64 v[98:99], v[30:31], v[196:197], v[28:29]
	v_mul_f64 v[30:31], v[20:21], v[210:211]
	v_fma_f64 v[102:103], v[66:67], v[192:193], -v[36:37]
	ds_read2_b64 v[36:39], v184 offset0:80 offset1:205
	v_fma_f64 v[78:79], v[24:25], v[200:201], v[42:43]
	v_fma_f64 v[70:71], v[26:27], v[204:205], v[50:51]
	ds_read2_b64 v[24:27], v185 offset0:62 offset1:187
	v_fma_f64 v[84:85], v[68:69], v[196:197], -v[40:41]
	s_waitcnt lgkmcnt(1)
	v_mul_f64 v[28:29], v[36:37], v[210:211]
	v_fma_f64 v[76:77], v[32:33], v[200:201], -v[46:47]
	v_fma_f64 v[68:69], v[34:35], v[204:205], -v[54:55]
	s_waitcnt vmcnt(0)
	v_mul_f64 v[32:33], v[38:39], v[64:65]
	v_mul_f64 v[34:35], v[22:23], v[64:65]
	v_fma_f64 v[80:81], v[36:37], v[208:209], -v[30:31]
	s_waitcnt lgkmcnt(0)
	v_mul_f64 v[36:37], v[26:27], v[218:219]
	v_mul_f64 v[30:31], v[16:17], v[214:215]
	v_fma_f64 v[82:83], v[20:21], v[208:209], v[28:29]
	v_mul_f64 v[28:29], v[24:25], v[214:215]
	v_mul_f64 v[40:41], v[18:19], v[218:219]
	v_fma_f64 v[74:75], v[22:23], v[62:63], v[32:33]
	v_fma_f64 v[72:73], v[38:39], v[62:63], -v[34:35]
	v_add_f64 v[32:33], v[52:53], v[48:49]
	v_fma_f64 v[142:143], v[18:19], v[216:217], v[36:37]
	v_add_f64 v[18:19], v[8:9], v[56:57]
	v_add_f64 v[38:39], v[56:57], v[44:45]
	ds_read2_b64 v[20:23], v186 offset0:44 offset1:169
	v_fma_f64 v[148:149], v[16:17], v[212:213], v[28:29]
	v_fma_f64 v[146:147], v[24:25], v[212:213], -v[30:31]
	v_mul_f64 v[28:29], v[12:13], v[222:223]
	v_fma_f64 v[24:25], v[32:33], -0.5, v[8:9]
	s_waitcnt lgkmcnt(0)
	v_mul_f64 v[30:31], v[22:23], v[226:227]
	v_mul_f64 v[32:33], v[14:15], v[226:227]
	v_add_f64 v[18:19], v[18:19], v[52:53]
	v_add_f64 v[42:43], v[132:133], -v[136:137]
	v_fma_f64 v[8:9], v[38:39], -0.5, v[8:9]
	v_fma_f64 v[140:141], v[26:27], v[216:217], -v[40:41]
	v_mul_f64 v[16:17], v[20:21], v[222:223]
	v_add_f64 v[26:27], v[126:127], -v[138:139]
	v_fma_f64 v[152:153], v[20:21], v[220:221], -v[28:29]
	v_fma_f64 v[150:151], v[14:15], v[224:225], v[30:31]
	v_fma_f64 v[144:145], v[22:23], v[224:225], -v[32:33]
	v_add_f64 v[14:15], v[18:19], v[48:49]
	v_add_f64 v[18:19], v[52:53], -v[56:57]
	v_add_f64 v[20:21], v[48:49], -v[44:45]
	v_fma_f64 v[22:23], v[42:43], s[14:15], v[8:9]
	v_add_f64 v[34:35], v[56:57], -v[52:53]
	v_add_f64 v[36:37], v[44:45], -v[48:49]
	v_fma_f64 v[40:41], v[26:27], s[4:5], v[24:25]
	v_fma_f64 v[8:9], v[42:43], s[4:5], v[8:9]
	;; [unrolled: 1-line block ×3, first 2 shown]
	v_mul_u32_u24_e32 v28, 0x258, v60
	v_add_f64 v[18:19], v[18:19], v[20:21]
	v_fma_f64 v[20:21], v[26:27], s[8:9], v[22:23]
	v_fma_f64 v[22:23], v[26:27], s[14:15], v[24:25]
	v_add_f64 v[12:13], v[34:35], v[36:37]
	v_fma_f64 v[16:17], v[42:43], s[8:9], v[40:41]
	v_add_f64 v[24:25], v[124:125], v[130:131]
	;; [unrolled: 2-line block ×3, first 2 shown]
	v_lshlrev_b32_sdwa v29, v164, v61 dst_sel:DWORD dst_unused:UNUSED_PAD src0_sel:DWORD src1_sel:BYTE_0
	v_add3_u32 v208, 0, v28, v29
	v_fma_f64 v[22:23], v[42:43], s[16:17], v[22:23]
	v_add_f64 v[14:15], v[14:15], v[44:45]
	v_fma_f64 v[16:17], v[12:13], s[6:7], v[16:17]
	v_fma_f64 v[20:21], v[18:19], s[6:7], v[20:21]
	v_fma_f64 v[24:25], v[24:25], -0.5, v[10:11]
	v_add_f64 v[28:29], v[106:107], -v[128:129]
	v_fma_f64 v[8:9], v[18:19], s[6:7], v[8:9]
	v_add_f64 v[18:19], v[114:115], v[134:135]
	v_fma_f64 v[12:13], v[12:13], s[6:7], v[22:23]
	v_add_f64 v[22:23], v[26:27], v[124:125]
	ds_read2_b64 v[192:195], v171 offset1:125
	ds_read2_b64 v[64:67], v176 offset0:122 offset1:247
	ds_read2_b64 v[60:63], v182 offset0:116 offset1:241
	s_waitcnt lgkmcnt(0)
	s_barrier
	v_add_f64 v[30:31], v[114:115], -v[124:125]
	v_add_f64 v[32:33], v[134:135], -v[130:131]
	ds_write2_b64 v208, v[14:15], v[16:17] offset1:15
	v_fma_f64 v[14:15], v[28:29], s[4:5], v[24:25]
	v_add_f64 v[16:17], v[118:119], -v[122:123]
	ds_write2_b64 v208, v[20:21], v[8:9] offset0:30 offset1:45
	v_fma_f64 v[8:9], v[18:19], -0.5, v[10:11]
	ds_write_b64 v208, v[12:13] offset:480
	v_add_f64 v[12:13], v[22:23], v[130:131]
	v_mul_u32_u24_e32 v22, 0x258, v156
	v_lshlrev_b32_sdwa v23, v164, v157 dst_sel:DWORD dst_unused:UNUSED_PAD src0_sel:DWORD src1_sel:BYTE_0
	v_add_f64 v[18:19], v[124:125], -v[114:115]
	v_add_f64 v[20:21], v[130:131], -v[134:135]
	v_add3_u32 v156, 0, v22, v23
	v_add_f64 v[22:23], v[112:113], v[116:117]
	v_fma_f64 v[24:25], v[28:29], s[14:15], v[24:25]
	v_add_f64 v[10:11], v[30:31], v[32:33]
	v_fma_f64 v[14:15], v[16:17], s[8:9], v[14:15]
	v_fma_f64 v[26:27], v[16:17], s[14:15], v[8:9]
	;; [unrolled: 1-line block ×3, first 2 shown]
	v_add_f64 v[18:19], v[18:19], v[20:21]
	v_add_f64 v[20:21], v[4:5], v[110:111]
	v_fma_f64 v[22:23], v[22:23], -0.5, v[4:5]
	v_add_f64 v[30:31], v[104:105], -v[102:103]
	v_fma_f64 v[16:17], v[16:17], s[16:17], v[24:25]
	v_add_f64 v[24:25], v[110:111], v[120:121]
	v_add_f64 v[12:13], v[12:13], v[134:135]
	v_fma_f64 v[14:15], v[10:11], s[6:7], v[14:15]
	v_fma_f64 v[26:27], v[28:29], s[8:9], v[26:27]
	;; [unrolled: 1-line block ×3, first 2 shown]
	v_add_f64 v[20:21], v[20:21], v[112:113]
	v_add_f64 v[28:29], v[110:111], -v[112:113]
	v_add_f64 v[32:33], v[120:121], -v[116:117]
	v_fma_f64 v[34:35], v[30:31], s[4:5], v[22:23]
	v_add_f64 v[36:37], v[108:109], -v[100:101]
	v_fma_f64 v[4:5], v[24:25], -0.5, v[4:5]
	ds_write2_b64 v156, v[12:13], v[14:15] offset1:15
	v_fma_f64 v[12:13], v[18:19], s[6:7], v[26:27]
	v_fma_f64 v[8:9], v[18:19], s[6:7], v[8:9]
	;; [unrolled: 1-line block ×3, first 2 shown]
	v_add_f64 v[16:17], v[20:21], v[116:117]
	v_add_f64 v[20:21], v[112:113], -v[110:111]
	v_add_f64 v[24:25], v[116:117], -v[120:121]
	v_add_f64 v[14:15], v[28:29], v[32:33]
	v_fma_f64 v[18:19], v[36:37], s[8:9], v[34:35]
	v_fma_f64 v[26:27], v[36:37], s[14:15], v[4:5]
	;; [unrolled: 1-line block ×3, first 2 shown]
	ds_write2_b64 v156, v[12:13], v[8:9] offset0:30 offset1:45
	ds_write_b64 v156, v[10:11] offset:480
	v_mul_u32_u24_e32 v28, 0x258, v158
	v_add_f64 v[8:9], v[16:17], v[120:121]
	v_add_f64 v[12:13], v[20:21], v[24:25]
	v_lshlrev_b32_e32 v20, 3, v161
	v_fma_f64 v[10:11], v[14:15], s[6:7], v[18:19]
	v_fma_f64 v[16:17], v[30:31], s[8:9], v[26:27]
	v_add_f64 v[18:19], v[94:95], v[96:97]
	v_add3_u32 v209, 0, v28, v20
	v_fma_f64 v[20:21], v[30:31], s[14:15], v[22:23]
	v_fma_f64 v[4:5], v[30:31], s[16:17], v[4:5]
	v_add_f64 v[22:23], v[90:91], v[98:99]
	v_add_f64 v[24:25], v[98:99], -v[96:97]
	ds_write2_b64 v209, v[8:9], v[10:11] offset1:15
	v_fma_f64 v[8:9], v[12:13], s[6:7], v[16:17]
	v_fma_f64 v[10:11], v[18:19], -0.5, v[6:7]
	v_add_f64 v[16:17], v[6:7], v[90:91]
	v_add_f64 v[18:19], v[86:87], -v[84:85]
	v_fma_f64 v[20:21], v[36:37], s[16:17], v[20:21]
	v_fma_f64 v[4:5], v[12:13], s[6:7], v[4:5]
	v_fma_f64 v[6:7], v[22:23], -0.5, v[6:7]
	v_add_f64 v[12:13], v[92:93], -v[88:89]
	v_add_f64 v[22:23], v[90:91], -v[94:95]
	;; [unrolled: 1-line block ×3, first 2 shown]
	v_add_f64 v[16:17], v[16:17], v[94:95]
	v_fma_f64 v[26:27], v[18:19], s[4:5], v[10:11]
	v_fma_f64 v[14:15], v[14:15], s[6:7], v[20:21]
	v_add_f64 v[20:21], v[94:95], -v[90:91]
	ds_write2_b64 v209, v[8:9], v[4:5] offset0:30 offset1:45
	ds_write_b64 v209, v[14:15] offset:480
	v_fma_f64 v[30:31], v[12:13], s[14:15], v[6:7]
	v_fma_f64 v[6:7], v[12:13], s[4:5], v[6:7]
	v_add_f64 v[22:23], v[22:23], v[24:25]
	v_add_f64 v[16:17], v[16:17], v[96:97]
	v_fma_f64 v[24:25], v[12:13], s[8:9], v[26:27]
	v_add_f64 v[4:5], v[20:21], v[28:29]
	v_fma_f64 v[10:11], v[18:19], s[14:15], v[10:11]
	v_mul_u32_u24_e32 v20, 0x258, v163
	v_fma_f64 v[8:9], v[18:19], s[8:9], v[30:31]
	v_fma_f64 v[6:7], v[18:19], s[16:17], v[6:7]
	v_add_f64 v[18:19], v[82:83], v[148:149]
	v_add_f64 v[14:15], v[16:17], v[98:99]
	v_fma_f64 v[16:17], v[22:23], s[6:7], v[24:25]
	v_lshlrev_b32_e32 v21, 3, v162
	v_add3_u32 v157, 0, v20, v21
	v_fma_f64 v[10:11], v[12:13], s[16:17], v[10:11]
	v_fma_f64 v[8:9], v[4:5], s[6:7], v[8:9]
	;; [unrolled: 1-line block ×3, first 2 shown]
	v_add_f64 v[6:7], v[78:79], v[154:155]
	v_add_f64 v[12:13], v[0:1], v[78:79]
	ds_write2_b64 v157, v[14:15], v[16:17] offset1:15
	v_fma_f64 v[14:15], v[18:19], -0.5, v[0:1]
	v_add_f64 v[16:17], v[76:77], -v[152:153]
	v_fma_f64 v[10:11], v[22:23], s[6:7], v[10:11]
	v_add_f64 v[20:21], v[82:83], -v[78:79]
	ds_write2_b64 v157, v[8:9], v[4:5] offset0:30 offset1:45
	v_add_f64 v[4:5], v[80:81], -v[146:147]
	v_fma_f64 v[0:1], v[6:7], -0.5, v[0:1]
	v_add_f64 v[6:7], v[78:79], -v[82:83]
	v_add_f64 v[8:9], v[154:155], -v[148:149]
	v_add_f64 v[12:13], v[12:13], v[82:83]
	v_fma_f64 v[18:19], v[16:17], s[4:5], v[14:15]
	v_add_f64 v[22:23], v[148:149], -v[154:155]
	ds_write_b64 v157, v[10:11] offset:480
	v_fma_f64 v[14:15], v[16:17], s[14:15], v[14:15]
	v_fma_f64 v[24:25], v[4:5], s[14:15], v[0:1]
	;; [unrolled: 1-line block ×3, first 2 shown]
	v_add_f64 v[6:7], v[6:7], v[8:9]
	v_add_f64 v[8:9], v[12:13], v[148:149]
	v_fma_f64 v[10:11], v[4:5], s[8:9], v[18:19]
	v_add_f64 v[12:13], v[20:21], v[22:23]
	v_mul_u32_u24_e32 v26, 0x258, v191
	v_fma_f64 v[4:5], v[4:5], s[16:17], v[14:15]
	v_fma_f64 v[18:19], v[16:17], s[8:9], v[24:25]
	;; [unrolled: 1-line block ×3, first 2 shown]
	v_add_f64 v[16:17], v[74:75], v[142:143]
	v_add_f64 v[8:9], v[8:9], v[154:155]
	v_fma_f64 v[10:11], v[6:7], s[6:7], v[10:11]
	v_add_f64 v[14:15], v[2:3], v[70:71]
	v_lshlrev_b32_e32 v20, 3, v165
	v_add3_u32 v165, 0, v26, v20
	v_fma_f64 v[18:19], v[12:13], s[6:7], v[18:19]
	v_fma_f64 v[0:1], v[12:13], s[6:7], v[0:1]
	v_fma_f64 v[12:13], v[16:17], -0.5, v[2:3]
	v_add_f64 v[16:17], v[70:71], v[150:151]
	v_add_f64 v[24:25], v[68:69], -v[144:145]
	ds_write2_b64 v165, v[8:9], v[10:11] offset1:15
	ds_write2_b64 v165, v[18:19], v[0:1] offset0:30 offset1:45
	v_fma_f64 v[0:1], v[6:7], s[6:7], v[4:5]
	v_add_f64 v[4:5], v[14:15], v[74:75]
	v_fma_f64 v[2:3], v[16:17], -0.5, v[2:3]
	v_add_f64 v[14:15], v[74:75], -v[70:71]
	v_add_f64 v[16:17], v[142:143], -v[150:151]
	;; [unrolled: 1-line block ×5, first 2 shown]
	v_fma_f64 v[10:11], v[24:25], s[4:5], v[12:13]
	v_fma_f64 v[12:13], v[24:25], s[14:15], v[12:13]
	ds_write_b64 v165, v[0:1] offset:480
	v_add_f64 v[0:1], v[4:5], v[142:143]
	v_add_f64 v[14:15], v[14:15], v[16:17]
	;; [unrolled: 1-line block ×5, first 2 shown]
	v_fma_f64 v[18:19], v[6:7], s[14:15], v[2:3]
	v_fma_f64 v[2:3], v[6:7], s[4:5], v[2:3]
	;; [unrolled: 1-line block ×4, first 2 shown]
	v_add_f64 v[12:13], v[126:127], -v[132:133]
	v_add_f64 v[16:17], v[16:17], v[132:133]
	v_add_f64 v[161:162], v[56:57], -v[44:45]
	v_fma_f64 v[196:197], v[4:5], -0.5, v[192:193]
	v_fma_f64 v[4:5], v[24:25], s[8:9], v[18:19]
	v_fma_f64 v[2:3], v[24:25], s[16:17], v[2:3]
	;; [unrolled: 1-line block ×4, first 2 shown]
	v_add_f64 v[18:19], v[138:139], -v[136:137]
	v_add_f64 v[8:9], v[16:17], v[136:137]
	v_add_f64 v[198:199], v[52:53], -v[48:49]
	v_add_f64 v[114:115], v[114:115], -v[134:135]
	v_fma_f64 v[4:5], v[14:15], s[6:7], v[4:5]
	v_fma_f64 v[2:3], v[14:15], s[6:7], v[2:3]
	v_mul_u32_u24_e32 v14, 0x258, v159
	v_fma_f64 v[20:21], v[161:162], s[14:15], v[196:197]
	v_add_f64 v[124:125], v[124:125], -v[130:131]
	v_add_f64 v[158:159], v[8:9], v[138:139]
	v_add_f64 v[8:9], v[126:127], v[138:139]
	v_add_f64 v[126:127], v[132:133], -v[126:127]
	v_add_f64 v[132:133], v[136:137], -v[138:139]
	v_add_f64 v[138:139], v[118:119], v[122:123]
	v_add_f64 v[130:131], v[106:107], -v[118:119]
	v_add_f64 v[204:205], v[128:129], -v[122:123]
	v_add_f64 v[200:201], v[12:13], v[18:19]
	v_fma_f64 v[12:13], v[198:199], s[16:17], v[20:21]
	v_fma_f64 v[136:137], v[8:9], -0.5, v[192:193]
	v_add_f64 v[191:192], v[194:195], v[106:107]
	v_add_f64 v[126:127], v[126:127], v[132:133]
	v_fma_f64 v[138:139], v[138:139], -0.5, v[194:195]
	v_lshlrev_b32_e32 v15, 3, v160
	v_add_f64 v[130:131], v[130:131], v[204:205]
	v_add_f64 v[0:1], v[0:1], v[150:151]
	v_fma_f64 v[202:203], v[200:201], s[6:7], v[12:13]
	v_fma_f64 v[132:133], v[198:199], s[4:5], v[136:137]
	;; [unrolled: 1-line block ×4, first 2 shown]
	v_add_f64 v[191:192], v[191:192], v[118:119]
	v_fma_f64 v[206:207], v[114:115], s[14:15], v[138:139]
	v_add_f64 v[196:197], v[106:107], v[128:129]
	v_add_f64 v[106:107], v[118:119], -v[106:107]
	v_add_f64 v[118:119], v[122:123], -v[128:129]
	v_fma_f64 v[132:133], v[161:162], s[16:17], v[132:133]
	v_fma_f64 v[134:135], v[161:162], s[8:9], v[134:135]
	;; [unrolled: 1-line block ×3, first 2 shown]
	v_add_f64 v[162:163], v[191:192], v[122:123]
	v_fma_f64 v[191:192], v[124:125], s[16:17], v[206:207]
	v_fma_f64 v[160:161], v[196:197], -0.5, v[194:195]
	v_add3_u32 v210, 0, v14, v15
	v_add_f64 v[106:107], v[106:107], v[118:119]
	v_fma_f64 v[132:133], v[126:127], s[6:7], v[132:133]
	v_fma_f64 v[126:127], v[126:127], s[6:7], v[134:135]
	;; [unrolled: 1-line block ×3, first 2 shown]
	v_add_f64 v[122:123], v[162:163], v[128:129]
	v_fma_f64 v[136:137], v[130:131], s[6:7], v[191:192]
	v_fma_f64 v[128:129], v[124:125], s[4:5], v[160:161]
	v_add_f64 v[118:119], v[108:109], v[100:101]
	ds_write2_b64 v210, v[0:1], v[10:11] offset1:15
	ds_write2_b64 v210, v[4:5], v[2:3] offset0:30 offset1:45
	ds_write_b64 v210, v[6:7] offset:480
	s_waitcnt lgkmcnt(0)
	s_barrier
	ds_read2_b64 v[4:7], v171 offset1:125
	ds_read2_b64 v[0:3], v176 offset0:122 offset1:247
	ds_read2_b64 v[56:59], v172 offset0:110 offset1:235
	;; [unrolled: 1-line block ×14, first 2 shown]
	s_waitcnt lgkmcnt(0)
	s_barrier
	ds_write2_b64 v208, v[158:159], v[202:203] offset1:15
	ds_write2_b64 v208, v[132:133], v[126:127] offset0:30 offset1:45
	ds_write_b64 v208, v[134:135] offset:480
	ds_write2_b64 v156, v[122:123], v[136:137] offset1:15
	v_add_f64 v[122:123], v[104:105], v[102:103]
	v_fma_f64 v[126:127], v[124:125], s[14:15], v[160:161]
	v_fma_f64 v[128:129], v[114:115], s[16:17], v[128:129]
	;; [unrolled: 1-line block ×3, first 2 shown]
	v_add_f64 v[110:111], v[110:111], -v[120:121]
	v_add_f64 v[120:121], v[64:65], v[104:105]
	v_fma_f64 v[118:119], v[118:119], -0.5, v[64:65]
	v_add_f64 v[112:113], v[112:113], -v[116:117]
	v_fma_f64 v[64:65], v[122:123], -0.5, v[64:65]
	v_fma_f64 v[114:115], v[114:115], s[8:9], v[126:127]
	v_fma_f64 v[126:127], v[106:107], s[6:7], v[128:129]
	;; [unrolled: 1-line block ×3, first 2 shown]
	v_add_f64 v[122:123], v[104:105], -v[108:109]
	v_add_f64 v[124:125], v[102:103], -v[100:101]
	v_add_f64 v[120:121], v[120:121], v[108:109]
	v_fma_f64 v[128:129], v[110:111], s[14:15], v[118:119]
	v_add_f64 v[104:105], v[108:109], -v[104:105]
	v_add_f64 v[108:109], v[100:101], -v[102:103]
	v_fma_f64 v[132:133], v[112:113], s[4:5], v[64:65]
	v_fma_f64 v[64:65], v[112:113], s[14:15], v[64:65]
	;; [unrolled: 1-line block ×3, first 2 shown]
	v_add_f64 v[122:123], v[122:123], v[124:125]
	v_add_f64 v[100:101], v[120:121], v[100:101]
	v_fma_f64 v[120:121], v[112:113], s[16:17], v[128:129]
	v_fma_f64 v[106:107], v[106:107], s[6:7], v[114:115]
	v_add_f64 v[104:105], v[104:105], v[108:109]
	v_fma_f64 v[108:109], v[110:111], s[16:17], v[132:133]
	v_fma_f64 v[64:65], v[110:111], s[8:9], v[64:65]
	;; [unrolled: 1-line block ×4, first 2 shown]
	v_add_f64 v[100:101], v[100:101], v[102:103]
	v_fma_f64 v[102:103], v[122:123], s[6:7], v[120:121]
	ds_write2_b64 v156, v[126:127], v[106:107] offset0:30 offset1:45
	v_add_f64 v[106:107], v[92:93], v[88:89]
	v_fma_f64 v[108:109], v[104:105], s[6:7], v[108:109]
	v_fma_f64 v[64:65], v[104:105], s[6:7], v[64:65]
	;; [unrolled: 1-line block ×3, first 2 shown]
	v_add_f64 v[110:111], v[86:87], v[84:85]
	ds_write_b64 v156, v[112:113] offset:480
	ds_write2_b64 v209, v[100:101], v[102:103] offset1:15
	v_add_f64 v[100:101], v[66:67], v[86:87]
	v_add_f64 v[90:91], v[90:91], -v[98:99]
	v_fma_f64 v[102:103], v[106:107], -0.5, v[66:67]
	ds_write2_b64 v209, v[108:109], v[64:65] offset0:30 offset1:45
	ds_write_b64 v209, v[104:105] offset:480
	v_add_f64 v[98:99], v[84:85], -v[88:89]
	v_fma_f64 v[64:65], v[110:111], -0.5, v[66:67]
	v_add_f64 v[66:67], v[94:95], -v[96:97]
	v_add_f64 v[96:97], v[100:101], v[92:93]
	v_add_f64 v[94:95], v[86:87], -v[92:93]
	v_fma_f64 v[100:101], v[90:91], s[14:15], v[102:103]
	v_fma_f64 v[102:103], v[90:91], s[4:5], v[102:103]
	v_add_f64 v[86:87], v[92:93], -v[86:87]
	v_add_f64 v[92:93], v[88:89], -v[84:85]
	;; [unrolled: 1-line block ×3, first 2 shown]
	v_fma_f64 v[104:105], v[66:67], s[4:5], v[64:65]
	v_add_f64 v[88:89], v[96:97], v[88:89]
	v_fma_f64 v[64:65], v[66:67], s[14:15], v[64:65]
	v_add_f64 v[94:95], v[94:95], v[98:99]
	v_fma_f64 v[96:97], v[66:67], s[16:17], v[100:101]
	v_fma_f64 v[66:67], v[66:67], s[8:9], v[102:103]
	v_add_f64 v[98:99], v[60:61], v[76:77]
	v_add_f64 v[86:87], v[86:87], v[92:93]
	v_fma_f64 v[92:93], v[90:91], s[16:17], v[104:105]
	v_add_f64 v[84:85], v[88:89], v[84:85]
	v_add_f64 v[88:89], v[80:81], v[146:147]
	v_fma_f64 v[64:65], v[90:91], s[8:9], v[64:65]
	v_fma_f64 v[90:91], v[94:95], s[6:7], v[96:97]
	;; [unrolled: 1-line block ×3, first 2 shown]
	v_add_f64 v[94:95], v[98:99], v[80:81]
	v_add_f64 v[96:97], v[76:77], -v[80:81]
	v_add_f64 v[98:99], v[76:77], v[152:153]
	v_add_f64 v[100:101], v[152:153], -v[146:147]
	v_fma_f64 v[88:89], v[88:89], -0.5, v[60:61]
	v_fma_f64 v[92:93], v[86:87], s[6:7], v[92:93]
	v_fma_f64 v[64:65], v[86:87], s[6:7], v[64:65]
	v_add_f64 v[82:83], v[82:83], -v[148:149]
	v_add_f64 v[86:87], v[94:95], v[146:147]
	v_add_f64 v[76:77], v[80:81], -v[76:77]
	v_fma_f64 v[60:61], v[98:99], -0.5, v[60:61]
	v_add_f64 v[94:95], v[96:97], v[100:101]
	v_fma_f64 v[80:81], v[78:79], s[14:15], v[88:89]
	v_fma_f64 v[88:89], v[78:79], s[4:5], v[88:89]
	v_add_f64 v[96:97], v[72:73], v[140:141]
	v_add_f64 v[102:103], v[68:69], v[144:145]
	v_add_f64 v[98:99], v[146:147], -v[152:153]
	v_add_f64 v[70:71], v[70:71], -v[150:151]
	v_fma_f64 v[100:101], v[82:83], s[4:5], v[60:61]
	v_fma_f64 v[60:61], v[82:83], s[14:15], v[60:61]
	;; [unrolled: 1-line block ×4, first 2 shown]
	v_fma_f64 v[88:89], v[96:97], -0.5, v[62:63]
	v_add_f64 v[96:97], v[62:63], v[68:69]
	v_fma_f64 v[62:63], v[102:103], -0.5, v[62:63]
	v_add_f64 v[74:75], v[74:75], -v[142:143]
	v_add_f64 v[76:77], v[76:77], v[98:99]
	v_fma_f64 v[98:99], v[78:79], s[16:17], v[100:101]
	v_add_f64 v[100:101], v[68:69], -v[72:73]
	v_add_f64 v[102:103], v[144:145], -v[140:141]
	v_fma_f64 v[104:105], v[70:71], s[14:15], v[88:89]
	v_add_f64 v[96:97], v[96:97], v[72:73]
	v_fma_f64 v[88:89], v[70:71], s[4:5], v[88:89]
	v_add_f64 v[68:69], v[72:73], -v[68:69]
	v_add_f64 v[72:73], v[140:141], -v[144:145]
	v_fma_f64 v[106:107], v[74:75], s[4:5], v[62:63]
	v_fma_f64 v[62:63], v[74:75], s[14:15], v[62:63]
	;; [unrolled: 1-line block ×3, first 2 shown]
	v_add_f64 v[78:79], v[100:101], v[102:103]
	v_fma_f64 v[100:101], v[74:75], s[16:17], v[104:105]
	v_fma_f64 v[74:75], v[74:75], s[8:9], v[88:89]
	v_add_f64 v[88:89], v[96:97], v[140:141]
	v_add_f64 v[68:69], v[68:69], v[72:73]
	v_fma_f64 v[72:73], v[70:71], s[16:17], v[106:107]
	v_fma_f64 v[62:63], v[70:71], s[8:9], v[62:63]
	v_add_f64 v[86:87], v[86:87], v[152:153]
	v_fma_f64 v[70:71], v[94:95], s[6:7], v[80:81]
	v_fma_f64 v[80:81], v[94:95], s[6:7], v[82:83]
	;; [unrolled: 1-line block ×4, first 2 shown]
	v_add_f64 v[76:77], v[88:89], v[144:145]
	v_fma_f64 v[88:89], v[78:79], s[6:7], v[100:101]
	v_fma_f64 v[72:73], v[68:69], s[6:7], v[72:73]
	;; [unrolled: 1-line block ×4, first 2 shown]
	ds_write2_b64 v157, v[84:85], v[90:91] offset1:15
	ds_write2_b64 v157, v[92:93], v[64:65] offset0:30 offset1:45
	ds_write_b64 v157, v[66:67] offset:480
	ds_write2_b64 v165, v[86:87], v[70:71] offset1:15
	ds_write2_b64 v165, v[82:83], v[60:61] offset0:30 offset1:45
	ds_write_b64 v165, v[80:81] offset:480
	;; [unrolled: 3-line block ×3, first 2 shown]
	v_add_u32_e32 v60, 0xffffffb5, v170
	v_cndmask_b32_e32 v126, v60, v170, vcc
	v_mul_i32_i24_e32 v102, 9, v126
	v_mov_b32_e32 v103, 0
	v_lshlrev_b64 v[60:61], 4, v[102:103]
	v_mov_b32_e32 v62, s13
	v_add_co_u32_e32 v68, vcc, s12, v60
	v_addc_co_u32_e32 v69, vcc, v62, v61, vcc
	s_waitcnt lgkmcnt(0)
	s_barrier
	global_load_dwordx4 v[70:73], v[68:69], off offset:1168
	v_mul_lo_u16_sdwa v60, v181, s18 dst_sel:DWORD dst_unused:UNUSED_PAD src0_sel:BYTE_0 src1_sel:DWORD
	v_lshrrev_b16_e32 v131, 14, v60
	v_mul_lo_u16_e32 v60, 0x4b, v131
	v_sub_u16_e32 v132, v181, v60
	v_mov_b32_e32 v60, 9
	v_mul_u32_u24_sdwa v60, v132, v60 dst_sel:DWORD dst_unused:UNUSED_PAD src0_sel:BYTE_0 src1_sel:DWORD
	v_lshlrev_b32_e32 v100, 4, v60
	global_load_dwordx4 v[74:77], v100, s[12:13] offset:1168
	global_load_dwordx4 v[78:81], v[68:69], off offset:1200
	global_load_dwordx4 v[82:85], v100, s[12:13] offset:1200
	global_load_dwordx4 v[86:89], v[68:69], off offset:1232
	;; [unrolled: 2-line block ×3, first 2 shown]
	global_load_dwordx4 v[116:119], v100, s[12:13] offset:1264
	global_load_dwordx4 v[120:123], v100, s[12:13] offset:1152
	s_mov_b32 s18, 0xb4e9
	v_mul_u32_u24_sdwa v60, v187, s18 dst_sel:DWORD dst_unused:UNUSED_PAD src0_sel:WORD_0 src1_sel:DWORD
	v_sub_u16_sdwa v61, v187, v60 dst_sel:DWORD dst_unused:UNUSED_PAD src0_sel:DWORD src1_sel:WORD_1
	v_lshrrev_b16_e32 v61, 1, v61
	v_add_u16_sdwa v60, v61, v60 dst_sel:DWORD dst_unused:UNUSED_PAD src0_sel:DWORD src1_sel:WORD_1
	v_lshrrev_b16_e32 v130, 6, v60
	v_mul_lo_u16_e32 v60, 0x4b, v130
	v_sub_u16_e32 v102, v187, v60
	v_mul_u32_u24_e32 v60, 9, v102
	v_lshlrev_b32_e32 v101, 4, v60
	global_load_dwordx4 v[133:136], v101, s[12:13] offset:1152
	global_load_dwordx4 v[137:140], v[68:69], off offset:1184
	global_load_dwordx4 v[141:144], v101, s[12:13] offset:1168
	global_load_dwordx4 v[145:148], v100, s[12:13] offset:1184
	;; [unrolled: 1-line block ×3, first 2 shown]
	ds_read2_b64 v[90:93], v172 offset0:110 offset1:235
	global_load_dwordx4 v[153:156], v[68:69], off offset:1216
	global_load_dwordx4 v[157:160], v101, s[12:13] offset:1200
	global_load_dwordx4 v[60:63], v[68:69], off offset:1152
	global_load_dwordx4 v[191:194], v100, s[12:13] offset:1216
	global_load_dwordx4 v[207:210], v100, s[12:13] offset:1248
	;; [unrolled: 1-line block ×4, first 2 shown]
	global_load_dwordx4 v[199:202], v[68:69], off offset:1248
	global_load_dwordx4 v[215:218], v[68:69], off offset:1280
	global_load_dwordx4 v[203:206], v101, s[12:13] offset:1232
	global_load_dwordx4 v[211:214], v101, s[12:13] offset:1248
	;; [unrolled: 1-line block ×4, first 2 shown]
	ds_read2_b64 v[94:97], v175 offset0:92 offset1:217
	s_movk_i32 s18, 0x4a
	v_mov_b32_e32 v129, 0x1770
	v_cmp_lt_u32_e32 vcc, s18, v170
	v_cndmask_b32_e32 v129, 0, v129, vcc
	v_lshlrev_b32_e32 v126, 3, v126
	s_mov_b32 s18, 0x9b97f4a8
	s_mov_b32 s19, 0x3fe9e377
	;; [unrolled: 1-line block ×3, first 2 shown]
	v_lshlrev_b32_sdwa v132, v164, v132 dst_sel:DWORD dst_unused:UNUSED_PAD src0_sel:DWORD src1_sel:BYTE_0
	v_mul_u32_u24_e32 v131, 0x1770, v131
	v_add3_u32 v165, 0, v131, v132
	v_add_u32_e32 v132, 0xc00, v165
	v_add_u32_e32 v131, 0x800, v165
	v_mul_u32_u24_e32 v130, 0x1770, v130
	v_lshlrev_b32_e32 v102, 3, v102
	v_add3_u32 v102, 0, v130, v102
	v_add_u32_e32 v130, 0x800, v102
	s_waitcnt vmcnt(26) lgkmcnt(1)
	v_mul_f64 v[64:65], v[90:91], v[72:73]
	v_mul_f64 v[66:67], v[56:57], v[72:73]
	s_waitcnt vmcnt(25)
	v_mul_f64 v[72:73], v[92:93], v[76:77]
	v_fma_f64 v[64:65], v[56:57], v[70:71], v[64:65]
	v_fma_f64 v[56:57], v[90:91], v[70:71], -v[66:67]
	v_mul_f64 v[66:67], v[58:59], v[76:77]
	s_waitcnt vmcnt(24) lgkmcnt(0)
	v_mul_f64 v[76:77], v[94:95], v[80:81]
	v_fma_f64 v[98:99], v[58:59], v[74:75], v[72:73]
	ds_read2_b64 v[70:73], v173 offset0:74 offset1:199
	s_waitcnt vmcnt(23)
	v_mul_f64 v[90:91], v[96:97], v[84:85]
	v_mul_f64 v[84:85], v[54:55], v[84:85]
	;; [unrolled: 1-line block ×3, first 2 shown]
	v_fma_f64 v[92:93], v[92:93], v[74:75], -v[66:67]
	v_fma_f64 v[66:67], v[52:53], v[78:79], v[76:77]
	s_waitcnt vmcnt(22) lgkmcnt(0)
	v_mul_f64 v[74:75], v[70:71], v[88:89]
	v_mul_f64 v[76:77], v[44:45], v[88:89]
	v_fma_f64 v[104:105], v[54:55], v[82:83], v[90:91]
	v_fma_f64 v[96:97], v[96:97], v[82:83], -v[84:85]
	ds_read2_b64 v[52:55], v174 offset0:56 offset1:181
	s_waitcnt vmcnt(20)
	v_mul_f64 v[82:83], v[48:49], v[114:115]
	v_fma_f64 v[58:59], v[94:95], v[78:79], -v[80:81]
	v_mul_f64 v[78:79], v[46:47], v[110:111]
	v_fma_f64 v[68:69], v[44:45], v[86:87], v[74:75]
	v_fma_f64 v[44:45], v[70:71], v[86:87], -v[76:77]
	v_mul_f64 v[70:71], v[72:73], v[110:111]
	ds_read2_b64 v[74:77], v182 offset0:116 offset1:241
	s_waitcnt vmcnt(19)
	v_mul_f64 v[86:87], v[50:51], v[118:119]
	s_waitcnt lgkmcnt(1)
	v_mul_f64 v[80:81], v[52:53], v[114:115]
	v_mul_f64 v[84:85], v[54:55], v[118:119]
	v_fma_f64 v[100:101], v[72:73], v[108:109], -v[78:79]
	s_waitcnt vmcnt(17)
	v_mul_f64 v[72:73], v[42:43], v[135:136]
	s_waitcnt vmcnt(15)
	v_mul_f64 v[88:89], v[32:33], v[143:144]
	v_fma_f64 v[106:107], v[46:47], v[108:109], v[70:71]
	s_waitcnt lgkmcnt(0)
	v_mul_f64 v[70:71], v[74:75], v[122:123]
	v_fma_f64 v[46:47], v[52:53], v[112:113], -v[82:83]
	v_fma_f64 v[94:95], v[54:55], v[116:117], -v[86:87]
	ds_read2_b64 v[52:55], v177 offset0:104 offset1:229
	v_fma_f64 v[48:49], v[48:49], v[112:113], v[80:81]
	v_fma_f64 v[108:109], v[50:51], v[116:117], v[84:85]
	ds_read2_b64 v[78:81], v183 offset0:98 offset1:223
	v_mul_f64 v[84:85], v[34:35], v[139:140]
	v_fma_f64 v[50:51], v[40:41], v[120:121], v[70:71]
	v_mul_f64 v[40:41], v[40:41], v[122:123]
	v_mul_f64 v[70:71], v[76:77], v[135:136]
	s_waitcnt lgkmcnt(1)
	v_mul_f64 v[82:83], v[54:55], v[139:140]
	v_mul_f64 v[86:87], v[52:53], v[143:144]
	s_waitcnt vmcnt(14) lgkmcnt(0)
	v_mul_f64 v[90:91], v[78:79], v[147:148]
	v_fma_f64 v[52:53], v[52:53], v[141:142], -v[88:89]
	s_waitcnt vmcnt(12)
	v_mul_f64 v[88:89], v[22:23], v[155:156]
	s_waitcnt vmcnt(11)
	v_mul_f64 v[114:115], v[20:21], v[159:160]
	v_fma_f64 v[110:111], v[74:75], v[120:121], -v[40:41]
	v_fma_f64 v[40:41], v[42:43], v[133:134], v[70:71]
	v_fma_f64 v[42:43], v[76:77], v[133:134], -v[72:73]
	v_fma_f64 v[120:121], v[34:35], v[137:138], v[82:83]
	;; [unrolled: 2-line block ×3, first 2 shown]
	ds_read2_b64 v[74:77], v180 offset0:86 offset1:211
	ds_read2_b64 v[84:87], v184 offset0:80 offset1:205
	v_fma_f64 v[70:71], v[36:37], v[145:146], v[90:91]
	v_mul_f64 v[32:33], v[36:37], v[147:148]
	v_mul_f64 v[36:37], v[80:81], v[151:152]
	s_waitcnt lgkmcnt(1)
	v_mul_f64 v[82:83], v[76:77], v[155:156]
	v_mul_f64 v[90:91], v[74:75], v[159:160]
	s_waitcnt vmcnt(9) lgkmcnt(0)
	v_mul_f64 v[116:117], v[84:85], v[193:194]
	v_mul_f64 v[72:73], v[38:39], v[151:152]
	v_fma_f64 v[74:75], v[74:75], v[157:158], -v[114:115]
	ds_read2_b64 v[133:136], v179 offset0:50 offset1:175
	v_fma_f64 v[112:113], v[78:79], v[145:146], -v[32:33]
	v_fma_f64 v[32:33], v[38:39], v[149:150], v[36:37]
	v_fma_f64 v[38:39], v[22:23], v[153:154], v[82:83]
	;; [unrolled: 1-line block ×4, first 2 shown]
	v_mul_f64 v[20:21], v[28:29], v[193:194]
	s_waitcnt vmcnt(7)
	v_mul_f64 v[28:29], v[86:87], v[197:198]
	v_fma_f64 v[72:73], v[80:81], v[149:150], -v[72:73]
	ds_read2_b64 v[78:81], v178 offset0:68 offset1:193
	ds_read2_b64 v[116:119], v185 offset0:62 offset1:187
	v_fma_f64 v[22:23], v[76:77], v[153:154], -v[88:89]
	s_waitcnt vmcnt(5)
	v_mul_f64 v[90:91], v[18:19], v[201:202]
	s_waitcnt vmcnt(3)
	v_mul_f64 v[127:128], v[16:17], v[205:206]
	s_waitcnt lgkmcnt(1)
	v_mul_f64 v[88:89], v[80:81], v[201:202]
	v_mul_f64 v[124:125], v[78:79], v[205:206]
	v_fma_f64 v[114:115], v[84:85], v[191:192], -v[20:21]
	v_fma_f64 v[20:21], v[30:31], v[195:196], v[28:29]
	s_waitcnt lgkmcnt(0)
	v_mul_f64 v[28:29], v[116:117], v[209:210]
	v_mul_f64 v[76:77], v[30:31], v[197:198]
	s_waitcnt vmcnt(2)
	v_mul_f64 v[84:85], v[26:27], v[213:214]
	v_fma_f64 v[78:79], v[78:79], v[203:204], -v[127:128]
	v_fma_f64 v[122:123], v[18:19], v[199:200], v[88:89]
	v_fma_f64 v[18:19], v[80:81], v[199:200], -v[90:91]
	v_fma_f64 v[88:89], v[16:17], v[203:204], v[124:125]
	v_mul_f64 v[16:17], v[24:25], v[209:210]
	v_mul_f64 v[80:81], v[118:119], v[213:214]
	v_fma_f64 v[30:31], v[24:25], v[207:208], v[28:29]
	v_mul_f64 v[24:25], v[135:136], v[217:218]
	v_mul_f64 v[28:29], v[14:15], v[217:218]
	s_waitcnt vmcnt(1)
	v_mul_f64 v[127:128], v[12:13], v[221:222]
	v_fma_f64 v[76:77], v[86:87], v[195:196], -v[76:77]
	v_mul_f64 v[86:87], v[133:134], v[221:222]
	v_fma_f64 v[116:117], v[116:117], v[207:208], -v[16:17]
	v_fma_f64 v[16:17], v[26:27], v[211:212], v[80:81]
	ds_read2_b64 v[137:140], v186 offset0:44 offset1:169
	v_fma_f64 v[124:125], v[14:15], v[215:216], v[24:25]
	ds_read2_b64 v[24:27], v176 offset0:122 offset1:247
	v_fma_f64 v[14:15], v[135:136], v[215:216], -v[28:29]
	v_fma_f64 v[80:81], v[133:134], v[219:220], -v[127:128]
	v_mul_f64 v[28:29], v[8:9], v[225:226]
	v_mul_f64 v[133:134], v[2:3], v[62:63]
	s_waitcnt lgkmcnt(0)
	v_mul_f64 v[62:63], v[26:27], v[62:63]
	v_fma_f64 v[90:91], v[12:13], v[219:220], v[86:87]
	v_mul_f64 v[12:13], v[137:138], v[225:226]
	v_add_f64 v[135:136], v[64:65], -v[66:67]
	v_add_f64 v[141:142], v[48:49], -v[68:69]
	v_fma_f64 v[84:85], v[118:119], v[211:212], -v[84:85]
	v_fma_f64 v[118:119], v[137:138], v[223:224], -v[28:29]
	v_add_f64 v[28:29], v[66:67], v[68:69]
	v_fma_f64 v[62:63], v[2:3], v[60:61], v[62:63]
	s_waitcnt vmcnt(0)
	v_mul_f64 v[86:87], v[139:140], v[229:230]
	v_mul_f64 v[127:128], v[10:11], v[229:230]
	v_fma_f64 v[12:13], v[8:9], v[223:224], v[12:13]
	v_fma_f64 v[8:9], v[26:27], v[60:61], -v[133:134]
	v_add_f64 v[26:27], v[22:23], v[18:19]
	v_add_f64 v[134:135], v[135:136], v[141:142]
	;; [unrolled: 1-line block ×3, first 2 shown]
	v_fma_f64 v[144:145], v[28:29], -0.5, v[4:5]
	v_add_f64 v[28:29], v[62:63], v[120:121]
	v_fma_f64 v[10:11], v[10:11], v[227:228], v[86:87]
	v_fma_f64 v[86:87], v[139:140], v[227:228], -v[127:128]
	v_add_f64 v[127:128], v[34:35], -v[22:23]
	v_fma_f64 v[138:139], v[26:27], -0.5, v[8:9]
	v_add_f64 v[140:141], v[120:121], -v[124:125]
	v_add_f64 v[26:27], v[14:15], -v[18:19]
	v_add_f64 v[142:143], v[4:5], v[64:65]
	v_add_f64 v[146:147], v[56:57], -v[46:47]
	v_fma_f64 v[136:137], v[136:137], -0.5, v[62:63]
	v_add_f64 v[148:149], v[34:35], -v[14:15]
	v_add_f64 v[28:29], v[28:29], v[38:39]
	v_add_f64 v[2:3], v[120:121], -v[38:39]
	v_add_f64 v[60:61], v[124:125], -v[122:123]
	v_fma_f64 v[150:151], v[140:141], s[14:15], v[138:139]
	v_add_f64 v[152:153], v[38:39], -v[122:123]
	v_add_f64 v[154:155], v[127:128], v[26:27]
	v_add_f64 v[26:27], v[142:143], v[66:67]
	v_fma_f64 v[127:128], v[146:147], s[4:5], v[144:145]
	v_add_f64 v[142:143], v[58:59], -v[44:45]
	v_fma_f64 v[156:157], v[148:149], s[4:5], v[136:137]
	v_add_f64 v[158:159], v[22:23], -v[18:19]
	v_add_f64 v[28:29], v[28:29], v[122:123]
	v_fma_f64 v[150:151], v[152:153], s[16:17], v[150:151]
	v_add_f64 v[160:161], v[2:3], v[60:61]
	v_add_f64 v[2:3], v[26:27], v[68:69]
	v_add3_u32 v133, 0, v129, v126
	v_fma_f64 v[26:27], v[142:143], s[8:9], v[127:128]
	v_add_f64 v[191:192], v[68:69], -v[48:49]
	v_fma_f64 v[127:128], v[158:159], s[8:9], v[156:157]
	v_add_f64 v[162:163], v[28:29], v[124:125]
	v_add_f64 v[28:29], v[34:35], v[14:15]
	v_fma_f64 v[60:61], v[154:155], s[6:7], v[150:151]
	v_add_f64 v[150:151], v[2:3], v[48:49]
	v_add_f64 v[193:194], v[120:121], v[124:125]
	v_add_f64 v[38:39], v[38:39], -v[120:121]
	v_add_f64 v[122:123], v[122:123], -v[124:125]
	v_fma_f64 v[2:3], v[160:161], s[6:7], v[127:128]
	v_add_f64 v[126:127], v[64:65], v[48:49]
	v_add_f64 v[128:129], v[66:67], -v[64:65]
	v_fma_f64 v[197:198], v[28:29], -0.5, v[8:9]
	v_fma_f64 v[136:137], v[148:149], s[14:15], v[136:137]
	v_fma_f64 v[62:63], v[193:194], -0.5, v[62:63]
	v_fma_f64 v[156:157], v[134:135], s[6:7], v[26:27]
	v_mul_f64 v[26:27], v[60:61], s[8:9]
	v_add_f64 v[199:200], v[96:97], -v[100:101]
	v_fma_f64 v[4:5], v[126:127], -0.5, v[4:5]
	v_add_f64 v[191:192], v[128:129], v[191:192]
	v_add_f64 v[126:127], v[22:23], -v[34:35]
	v_add_f64 v[128:129], v[18:19], -v[14:15]
	v_fma_f64 v[120:121], v[152:153], s[4:5], v[197:198]
	v_fma_f64 v[124:125], v[152:153], s[14:15], v[197:198]
	;; [unrolled: 1-line block ×7, first 2 shown]
	v_add_f64 v[126:127], v[126:127], v[128:129]
	v_fma_f64 v[128:129], v[140:141], s[4:5], v[138:139]
	v_fma_f64 v[120:121], v[140:141], s[16:17], v[120:121]
	;; [unrolled: 1-line block ×3, first 2 shown]
	v_add_f64 v[140:141], v[38:39], v[122:123]
	v_fma_f64 v[122:123], v[148:149], s[8:9], v[197:198]
	v_fma_f64 v[62:63], v[148:149], s[16:17], v[62:63]
	;; [unrolled: 1-line block ×13, first 2 shown]
	v_mul_f64 v[144:145], v[38:39], s[4:5]
	v_mul_f64 v[62:63], v[128:129], s[4:5]
	v_fma_f64 v[140:141], v[142:143], s[16:17], v[120:121]
	v_fma_f64 v[120:121], v[160:161], s[6:7], v[136:137]
	;; [unrolled: 1-line block ×3, first 2 shown]
	v_add_f64 v[154:155], v[156:157], -v[195:196]
	ds_read2_b64 v[26:29], v171 offset1:125
	v_mul_f64 v[136:137], v[122:123], s[8:9]
	v_fma_f64 v[142:143], v[124:125], s[6:7], v[144:145]
	v_fma_f64 v[62:63], v[126:127], s[20:21], v[62:63]
	v_fma_f64 v[140:141], v[134:135], s[6:7], v[140:141]
	v_add_f64 v[134:135], v[150:151], v[162:163]
	s_waitcnt lgkmcnt(0)
	s_barrier
	v_fma_f64 v[144:145], v[120:121], s[22:23], v[136:137]
	v_add_f64 v[136:137], v[156:157], v[195:196]
	v_add_f64 v[146:147], v[138:139], v[142:143]
	;; [unrolled: 1-line block ×3, first 2 shown]
	v_add_f64 v[138:139], v[138:139], -v[142:143]
	ds_write2_b64 v133, v[134:135], v[136:137] offset1:75
	ds_write2_b64 v133, v[146:147], v[148:149] offset0:150 offset1:225
	v_add_u32_e32 v136, 0xc00, v133
	v_add_f64 v[150:151], v[150:151], -v[162:163]
	v_add_f64 v[152:153], v[140:141], v[144:145]
	v_add_f64 v[142:143], v[104:105], v[106:107]
	ds_write2_b64 v136, v[154:155], v[138:139] offset0:66 offset1:141
	v_add_f64 v[137:138], v[114:115], v[116:117]
	v_add_u32_e32 v135, 0x800, v133
	v_add_f64 v[4:5], v[4:5], -v[62:63]
	v_add_f64 v[62:63], v[140:141], -v[144:145]
	;; [unrolled: 1-line block ×3, first 2 shown]
	ds_write2_b64 v135, v[152:153], v[150:151] offset0:44 offset1:119
	v_fma_f64 v[139:140], v[142:143], -0.5, v[6:7]
	v_add_f64 v[151:152], v[36:37], v[30:31]
	v_fma_f64 v[137:138], v[137:138], -0.5, v[110:111]
	v_add_f64 v[153:154], v[70:71], -v[12:13]
	v_add_f64 v[157:158], v[118:119], -v[116:117]
	v_add_f64 v[161:162], v[50:51], v[70:71]
	v_add_f64 v[191:192], v[92:93], -v[94:95]
	v_add_f64 v[141:142], v[98:99], v[108:109]
	v_add_f64 v[145:146], v[98:99], -v[104:105]
	v_add_f64 v[147:148], v[108:109], -v[106:107]
	v_fma_f64 v[151:152], v[151:152], -0.5, v[50:51]
	v_add_f64 v[193:194], v[112:113], -v[118:119]
	v_fma_f64 v[195:196], v[153:154], s[14:15], v[137:138]
	v_add_f64 v[197:198], v[36:37], -v[30:31]
	v_add_f64 v[155:156], v[155:156], v[157:158]
	v_add_f64 v[157:158], v[161:162], v[36:37]
	v_fma_f64 v[161:162], v[191:192], s[4:5], v[139:140]
	v_add_f64 v[143:144], v[6:7], v[98:99]
	v_add_f64 v[149:150], v[70:71], -v[36:37]
	v_add_f64 v[159:160], v[12:13], -v[30:31]
	v_fma_f64 v[201:202], v[193:194], s[4:5], v[151:152]
	v_add_f64 v[203:204], v[114:115], -v[116:117]
	v_fma_f64 v[195:196], v[197:198], s[16:17], v[195:196]
	v_fma_f64 v[6:7], v[141:142], -0.5, v[6:7]
	v_add_f64 v[141:142], v[145:146], v[147:148]
	v_fma_f64 v[147:148], v[199:200], s[8:9], v[161:162]
	v_add_f64 v[161:162], v[112:113], v[118:119]
	v_add_f64 v[145:146], v[149:150], v[159:160]
	;; [unrolled: 1-line block ×3, first 2 shown]
	v_fma_f64 v[157:158], v[203:204], s[8:9], v[201:202]
	v_fma_f64 v[159:160], v[155:156], s[6:7], v[195:196]
	v_add_f64 v[195:196], v[104:105], -v[98:99]
	v_add_f64 v[201:202], v[106:107], -v[108:109]
	v_add_f64 v[205:206], v[70:71], v[12:13]
	v_fma_f64 v[161:162], v[161:162], -0.5, v[110:111]
	v_add_f64 v[36:37], v[36:37], -v[70:71]
	v_add_f64 v[149:150], v[149:150], v[12:13]
	v_add_f64 v[12:13], v[30:31], -v[12:13]
	v_add_f64 v[30:31], v[114:115], -v[112:113]
	;; [unrolled: 1-line block ×3, first 2 shown]
	v_add_f64 v[195:196], v[195:196], v[201:202]
	v_fma_f64 v[50:51], v[205:206], -0.5, v[50:51]
	v_fma_f64 v[201:202], v[197:198], s[4:5], v[161:162]
	v_fma_f64 v[161:162], v[197:198], s[14:15], v[161:162]
	;; [unrolled: 1-line block ×3, first 2 shown]
	v_add_f64 v[143:144], v[143:144], v[104:105]
	v_fma_f64 v[205:206], v[199:200], s[14:15], v[6:7]
	v_add_f64 v[30:31], v[30:31], v[70:71]
	v_fma_f64 v[151:152], v[193:194], s[14:15], v[151:152]
	v_fma_f64 v[209:210], v[203:204], s[14:15], v[50:51]
	v_fma_f64 v[50:51], v[203:204], s[4:5], v[50:51]
	v_fma_f64 v[70:71], v[153:154], s[16:17], v[201:202]
	v_fma_f64 v[153:154], v[153:154], s[8:9], v[161:162]
	v_fma_f64 v[137:138], v[197:198], s[8:9], v[137:138]
	v_add_f64 v[12:13], v[36:37], v[12:13]
	v_fma_f64 v[6:7], v[199:200], s[4:5], v[6:7]
	v_add_f64 v[143:144], v[143:144], v[106:107]
	v_fma_f64 v[36:37], v[193:194], s[8:9], v[209:210]
	v_fma_f64 v[50:51], v[193:194], s[16:17], v[50:51]
	;; [unrolled: 1-line block ×5, first 2 shown]
	v_mul_f64 v[207:208], v[159:160], s[8:9]
	v_fma_f64 v[161:162], v[191:192], s[8:9], v[205:206]
	v_fma_f64 v[30:31], v[191:192], s[14:15], v[139:140]
	;; [unrolled: 1-line block ×6, first 2 shown]
	v_mul_f64 v[12:13], v[193:194], s[4:5]
	v_fma_f64 v[6:7], v[191:192], s[16:17], v[6:7]
	v_mul_f64 v[36:37], v[153:154], s[4:5]
	v_add_f64 v[143:144], v[143:144], v[108:109]
	v_fma_f64 v[147:148], v[141:142], s[6:7], v[147:148]
	v_fma_f64 v[30:31], v[199:200], s[16:17], v[30:31]
	;; [unrolled: 1-line block ×3, first 2 shown]
	v_mul_f64 v[50:51], v[137:138], s[8:9]
	v_fma_f64 v[70:71], v[157:158], s[18:19], v[207:208]
	v_fma_f64 v[155:156], v[195:196], s[6:7], v[161:162]
	;; [unrolled: 1-line block ×5, first 2 shown]
	v_add_u32_e32 v134, 0x1000, v133
	ds_write2_b64 v134, v[4:5], v[62:63] offset0:88 offset1:163
	v_fma_f64 v[4:5], v[141:142], s[6:7], v[30:31]
	v_fma_f64 v[30:31], v[145:146], s[22:23], v[50:51]
	v_add_f64 v[50:51], v[143:144], v[149:150]
	v_add_f64 v[62:63], v[147:148], v[70:71]
	;; [unrolled: 1-line block ×3, first 2 shown]
	v_add_f64 v[70:71], v[147:148], -v[70:71]
	v_add_f64 v[12:13], v[155:156], -v[12:13]
	v_add_f64 v[161:162], v[6:7], v[36:37]
	v_add_f64 v[143:144], v[143:144], -v[149:150]
	v_add_f64 v[149:150], v[4:5], v[30:31]
	ds_write2_b64 v165, v[50:51], v[62:63] offset1:75
	ds_write2_b64 v165, v[141:142], v[161:162] offset0:150 offset1:225
	v_add_f64 v[50:51], v[82:83], v[88:89]
	ds_write2_b64 v132, v[70:71], v[12:13] offset0:66 offset1:141
	v_add_f64 v[12:13], v[76:77], v[84:85]
	ds_write2_b64 v131, v[149:150], v[143:144] offset0:44 offset1:119
	v_add_f64 v[4:5], v[4:5], -v[30:31]
	v_add_f64 v[143:144], v[20:21], v[16:17]
	v_add_f64 v[147:148], v[32:33], -v[10:11]
	v_add_f64 v[149:150], v[72:73], -v[76:77]
	v_fma_f64 v[30:31], v[50:51], -0.5, v[0:1]
	v_add_f64 v[155:156], v[86:87], -v[84:85]
	v_fma_f64 v[12:13], v[12:13], -0.5, v[42:43]
	v_add_f64 v[163:164], v[40:41], v[32:33]
	v_add_f64 v[191:192], v[52:53], -v[80:81]
	v_add_f64 v[6:7], v[6:7], -v[36:37]
	v_add_f64 v[36:37], v[54:55], v[90:91]
	v_add_f64 v[62:63], v[54:55], -v[82:83]
	v_add_f64 v[70:71], v[90:91], -v[88:89]
	v_fma_f64 v[143:144], v[143:144], -0.5, v[40:41]
	v_add_f64 v[195:196], v[72:73], -v[86:87]
	v_fma_f64 v[197:198], v[147:148], s[14:15], v[12:13]
	v_add_f64 v[199:200], v[20:21], -v[16:17]
	v_add_f64 v[149:150], v[149:150], v[155:156]
	v_add_f64 v[155:156], v[163:164], v[20:21]
	v_fma_f64 v[163:164], v[191:192], s[4:5], v[30:31]
	v_add_f64 v[201:202], v[74:75], -v[78:79]
	v_add_f64 v[50:51], v[0:1], v[54:55]
	v_add_f64 v[141:142], v[32:33], -v[20:21]
	v_add_f64 v[161:162], v[10:11], -v[16:17]
	v_fma_f64 v[203:204], v[195:196], s[4:5], v[143:144]
	v_add_f64 v[205:206], v[76:77], -v[84:85]
	v_fma_f64 v[197:198], v[199:200], s[16:17], v[197:198]
	v_fma_f64 v[0:1], v[36:37], -0.5, v[0:1]
	v_add_f64 v[36:37], v[62:63], v[70:71]
	v_fma_f64 v[70:71], v[201:202], s[8:9], v[163:164]
	v_add_f64 v[163:164], v[72:73], v[86:87]
	v_add_f64 v[62:63], v[141:142], v[161:162]
	;; [unrolled: 1-line block ×3, first 2 shown]
	v_fma_f64 v[155:156], v[205:206], s[8:9], v[203:204]
	v_fma_f64 v[161:162], v[149:150], s[6:7], v[197:198]
	v_add_f64 v[197:198], v[82:83], -v[54:55]
	v_add_f64 v[203:204], v[88:89], -v[90:91]
	v_add_f64 v[207:208], v[32:33], v[10:11]
	v_fma_f64 v[163:164], v[163:164], -0.5, v[42:43]
	v_add_f64 v[20:21], v[20:21], -v[32:33]
	v_add_f64 v[141:142], v[141:142], v[10:11]
	v_add_f64 v[10:11], v[16:17], -v[10:11]
	v_add_f64 v[16:17], v[76:77], -v[72:73]
	v_add_f64 v[32:33], v[84:85], -v[86:87]
	v_add_f64 v[197:198], v[197:198], v[203:204]
	v_fma_f64 v[40:41], v[207:208], -0.5, v[40:41]
	v_fma_f64 v[203:204], v[199:200], s[4:5], v[163:164]
	v_fma_f64 v[163:164], v[199:200], s[14:15], v[163:164]
	v_fma_f64 v[12:13], v[147:148], s[4:5], v[12:13]
	v_add_f64 v[50:51], v[50:51], v[82:83]
	v_fma_f64 v[143:144], v[195:196], s[14:15], v[143:144]
	v_add_f64 v[16:17], v[16:17], v[32:33]
	v_fma_f64 v[207:208], v[201:202], s[14:15], v[0:1]
	v_fma_f64 v[211:212], v[205:206], s[14:15], v[40:41]
	;; [unrolled: 1-line block ×7, first 2 shown]
	v_add_f64 v[10:11], v[20:21], v[10:11]
	v_add_f64 v[50:51], v[50:51], v[88:89]
	v_fma_f64 v[20:21], v[195:196], s[8:9], v[211:212]
	v_fma_f64 v[40:41], v[195:196], s[16:17], v[40:41]
	;; [unrolled: 1-line block ×5, first 2 shown]
	v_mul_f64 v[209:210], v[161:162], s[8:9]
	v_fma_f64 v[16:17], v[191:192], s[14:15], v[30:31]
	v_fma_f64 v[30:31], v[205:206], s[16:17], v[143:144]
	;; [unrolled: 1-line block ×7, first 2 shown]
	v_mul_f64 v[10:11], v[195:196], s[4:5]
	v_mul_f64 v[12:13], v[147:148], s[4:5]
	v_add_f64 v[50:51], v[50:51], v[90:91]
	v_fma_f64 v[70:71], v[36:37], s[6:7], v[70:71]
	v_fma_f64 v[199:200], v[62:63], s[6:7], v[30:31]
	;; [unrolled: 1-line block ×8, first 2 shown]
	v_add_u32_e32 v215, 0x1000, v165
	ds_write2_b64 v215, v[6:7], v[4:5] offset0:88 offset1:163
	v_add_f64 v[4:5], v[50:51], v[141:142]
	v_add_f64 v[6:7], v[70:71], v[30:31]
	v_fma_f64 v[16:17], v[36:37], s[6:7], v[16:17]
	v_add_f64 v[50:51], v[50:51], -v[141:142]
	v_add_f64 v[36:37], v[32:33], v[10:11]
	v_add_f64 v[40:41], v[0:1], v[12:13]
	ds_write2_b64 v102, v[4:5], v[6:7] offset1:75
	ds_write2_b64 v102, v[36:37], v[40:41] offset0:150 offset1:225
	v_add_f64 v[4:5], v[8:9], v[34:35]
	v_add_f64 v[141:142], v[58:59], v[44:45]
	v_add_f64 v[34:35], v[64:65], -v[48:49]
	v_mul_f64 v[20:21], v[143:144], s[8:9]
	v_add_f64 v[6:7], v[26:27], v[56:57]
	v_add_f64 v[8:9], v[70:71], -v[30:31]
	v_add_f64 v[10:11], v[32:33], -v[10:11]
	;; [unrolled: 1-line block ×3, first 2 shown]
	v_add_f64 v[4:5], v[4:5], v[22:23]
	v_fma_f64 v[36:37], v[141:142], -0.5, v[26:27]
	v_add_f64 v[22:23], v[56:57], -v[58:59]
	v_add_f64 v[141:142], v[66:67], -v[68:69]
	v_fma_f64 v[20:21], v[199:200], s[22:23], v[20:21]
	v_add_f64 v[6:7], v[6:7], v[58:59]
	v_add_f64 v[0:1], v[0:1], -v[12:13]
	v_mul_f64 v[211:212], v[38:39], s[6:7]
	v_add_f64 v[4:5], v[4:5], v[18:19]
	v_fma_f64 v[32:33], v[34:35], s[14:15], v[36:37]
	v_add_f64 v[163:164], v[22:23], v[30:31]
	v_add_f64 v[30:31], v[58:59], -v[56:57]
	v_add_f64 v[62:63], v[16:17], v[20:21]
	v_add_f64 v[12:13], v[16:17], -v[20:21]
	v_mul_f64 v[16:17], v[60:61], s[18:19]
	v_add_f64 v[6:7], v[6:7], v[44:45]
	v_add_f64 v[197:198], v[4:5], v[14:15]
	;; [unrolled: 1-line block ×3, first 2 shown]
	v_fma_f64 v[18:19], v[141:142], s[16:17], v[32:33]
	v_add_f64 v[32:33], v[44:45], -v[46:47]
	v_mul_f64 v[128:129], v[128:129], s[20:21]
	v_fma_f64 v[213:214], v[34:35], s[4:5], v[36:37]
	v_fma_f64 v[201:202], v[2:3], s[16:17], v[16:17]
	v_add_f64 v[203:204], v[6:7], v[46:47]
	v_fma_f64 v[124:125], v[124:125], s[14:15], v[211:212]
	v_fma_f64 v[26:27], v[4:5], -0.5, v[26:27]
	v_fma_f64 v[205:206], v[163:164], s[6:7], v[18:19]
	v_add_f64 v[207:208], v[30:31], v[32:33]
	v_fma_f64 v[126:127], v[126:127], s[14:15], v[128:129]
	v_fma_f64 v[128:129], v[141:142], s[8:9], v[213:214]
	v_add_u32_e32 v216, 0xc00, v102
	v_add_u32_e32 v217, 0x1000, v102
	v_add_f64 v[110:111], v[110:111], v[112:113]
	v_fma_f64 v[40:41], v[141:142], s[4:5], v[26:27]
	v_fma_f64 v[26:27], v[141:142], s[14:15], v[26:27]
	v_add_f64 v[141:142], v[203:204], v[197:198]
	v_add_f64 v[112:113], v[96:97], v[100:101]
	ds_write2_b64 v130, v[62:63], v[50:51] offset0:44 offset1:119
	ds_write2_b64 v216, v[8:9], v[10:11] offset0:66 offset1:141
	;; [unrolled: 1-line block ×3, first 2 shown]
	s_waitcnt lgkmcnt(0)
	v_fma_f64 v[209:210], v[34:35], s[16:17], v[40:41]
	v_fma_f64 v[26:27], v[34:35], s[8:9], v[26:27]
	s_barrier
	ds_read2_b64 v[0:3], v171 offset1:125
	ds_read2_b64 v[4:7], v172 offset0:110 offset1:235
	ds_read2_b64 v[12:15], v175 offset0:92 offset1:217
	;; [unrolled: 1-line block ×11, first 2 shown]
	v_fma_f64 v[209:210], v[207:208], s[6:7], v[209:210]
	v_fma_f64 v[26:27], v[207:208], s[6:7], v[26:27]
	v_add_f64 v[207:208], v[205:206], v[201:202]
	ds_read2_b64 v[38:41], v184 offset0:80 offset1:205
	ds_read2_b64 v[48:51], v185 offset0:62 offset1:187
	;; [unrolled: 1-line block ×3, first 2 shown]
	s_waitcnt lgkmcnt(0)
	s_barrier
	v_add_f64 v[211:212], v[209:210], v[124:125]
	v_add_f64 v[213:214], v[26:27], v[126:127]
	ds_write2_b64 v133, v[141:142], v[207:208] offset1:75
	ds_write2_b64 v133, v[211:212], v[213:214] offset0:150 offset1:225
	v_add_f64 v[141:142], v[92:93], v[94:95]
	v_add_f64 v[110:111], v[110:111], v[114:115]
	v_fma_f64 v[112:113], v[112:113], -0.5, v[28:29]
	v_add_f64 v[114:115], v[28:29], v[92:93]
	v_add_f64 v[98:99], v[98:99], -v[108:109]
	v_add_f64 v[104:105], v[104:105], -v[106:107]
	;; [unrolled: 1-line block ×4, first 2 shown]
	v_fma_f64 v[28:29], v[141:142], -0.5, v[28:29]
	v_add_f64 v[124:125], v[94:95], -v[100:101]
	v_add_f64 v[110:111], v[110:111], v[116:117]
	v_add_f64 v[114:115], v[114:115], v[96:97]
	v_fma_f64 v[116:117], v[98:99], s[14:15], v[112:113]
	v_add_f64 v[92:93], v[96:97], -v[92:93]
	v_add_f64 v[96:97], v[100:101], -v[94:95]
	v_mul_f64 v[122:123], v[122:123], s[22:23]
	v_fma_f64 v[141:142], v[104:105], s[4:5], v[28:29]
	v_fma_f64 v[28:29], v[104:105], s[14:15], v[28:29]
	v_add_f64 v[106:107], v[106:107], v[124:125]
	v_add_f64 v[110:111], v[110:111], v[118:119]
	v_mul_f64 v[118:119], v[159:160], s[18:19]
	v_add_f64 v[100:101], v[114:115], v[100:101]
	v_fma_f64 v[114:115], v[104:105], s[16:17], v[116:117]
	v_add_f64 v[92:93], v[92:93], v[96:97]
	v_fma_f64 v[96:97], v[98:99], s[16:17], v[141:142]
	v_fma_f64 v[28:29], v[98:99], s[8:9], v[28:29]
	v_mul_f64 v[116:117], v[193:194], s[6:7]
	v_mul_f64 v[124:125], v[153:154], s[20:21]
	v_fma_f64 v[98:99], v[98:99], s[4:5], v[112:113]
	v_fma_f64 v[128:129], v[163:164], s[6:7], v[128:129]
	;; [unrolled: 1-line block ×4, first 2 shown]
	v_add_f64 v[94:95], v[100:101], v[94:95]
	v_fma_f64 v[100:101], v[106:107], s[6:7], v[114:115]
	v_fma_f64 v[96:97], v[92:93], s[6:7], v[96:97]
	;; [unrolled: 1-line block ×6, first 2 shown]
	v_add_f64 v[122:123], v[203:204], -v[197:198]
	v_add_f64 v[163:164], v[128:129], v[120:121]
	v_add_f64 v[197:198], v[205:206], -v[201:202]
	v_add_f64 v[26:27], v[26:27], -v[126:127]
	;; [unrolled: 1-line block ×3, first 2 shown]
	v_add_f64 v[116:117], v[94:95], v[110:111]
	v_add_f64 v[120:121], v[100:101], v[118:119]
	;; [unrolled: 1-line block ×4, first 2 shown]
	v_fma_f64 v[98:99], v[106:107], s[6:7], v[98:99]
	v_add_f64 v[106:107], v[74:75], v[78:79]
	ds_write2_b64 v135, v[163:164], v[122:123] offset0:44 offset1:119
	ds_write2_b64 v136, v[197:198], v[108:109] offset0:66 offset1:141
	;; [unrolled: 1-line block ×3, first 2 shown]
	ds_write2_b64 v165, v[116:117], v[120:121] offset1:75
	ds_write2_b64 v165, v[124:125], v[126:127] offset0:150 offset1:225
	v_add_f64 v[26:27], v[52:53], v[80:81]
	v_add_f64 v[94:95], v[94:95], -v[110:111]
	v_add_f64 v[110:111], v[24:25], v[52:53]
	v_fma_f64 v[106:107], v[106:107], -0.5, v[24:25]
	v_add_f64 v[54:55], v[54:55], -v[90:91]
	v_add_f64 v[42:43], v[42:43], v[72:73]
	v_add_f64 v[90:91], v[96:97], -v[92:93]
	v_mul_f64 v[104:105], v[137:138], s[22:23]
	v_fma_f64 v[24:25], v[26:27], -0.5, v[24:25]
	v_add_f64 v[26:27], v[82:83], -v[88:89]
	v_add_f64 v[72:73], v[110:111], v[74:75]
	v_add_f64 v[82:83], v[52:53], -v[74:75]
	v_add_f64 v[88:89], v[80:81], -v[78:79]
	v_fma_f64 v[92:93], v[54:55], s[14:15], v[106:107]
	v_fma_f64 v[96:97], v[54:55], s[4:5], v[106:107]
	v_add_f64 v[42:43], v[42:43], v[76:77]
	v_add_f64 v[52:53], v[74:75], -v[52:53]
	v_add_f64 v[74:75], v[78:79], -v[80:81]
	v_fma_f64 v[106:107], v[26:27], s[4:5], v[24:25]
	v_fma_f64 v[24:25], v[26:27], s[14:15], v[24:25]
	v_add_f64 v[72:73], v[72:73], v[78:79]
	v_add_f64 v[76:77], v[82:83], v[88:89]
	v_fma_f64 v[82:83], v[26:27], s[16:17], v[92:93]
	v_fma_f64 v[26:27], v[26:27], s[8:9], v[96:97]
	v_add_f64 v[42:43], v[42:43], v[84:85]
	v_mul_f64 v[78:79], v[161:162], s[18:19]
	v_add_f64 v[52:53], v[52:53], v[74:75]
	v_fma_f64 v[74:75], v[54:55], s[16:17], v[106:107]
	v_fma_f64 v[24:25], v[54:55], s[8:9], v[24:25]
	v_add_f64 v[72:73], v[72:73], v[80:81]
	v_mul_f64 v[80:81], v[195:196], s[6:7]
	v_mul_f64 v[84:85], v[147:148], s[20:21]
	;; [unrolled: 1-line block ×3, first 2 shown]
	v_fma_f64 v[104:105], v[145:146], s[16:17], v[104:105]
	v_fma_f64 v[82:83], v[76:77], s[6:7], v[82:83]
	v_add_f64 v[42:43], v[42:43], v[86:87]
	v_fma_f64 v[26:27], v[76:77], s[6:7], v[26:27]
	v_fma_f64 v[76:77], v[155:156], s[16:17], v[78:79]
	;; [unrolled: 1-line block ×7, first 2 shown]
	v_add_f64 v[108:109], v[98:99], v[104:105]
	v_add_f64 v[100:101], v[100:101], -v[118:119]
	v_add_f64 v[28:29], v[28:29], -v[112:113]
	;; [unrolled: 1-line block ×3, first 2 shown]
	v_add_f64 v[84:85], v[72:73], v[42:43]
	v_add_f64 v[42:43], v[72:73], -v[42:43]
	v_add_f64 v[72:73], v[82:83], v[76:77]
	v_add_f64 v[76:77], v[82:83], -v[76:77]
	;; [unrolled: 2-line block ×3, first 2 shown]
	v_add_f64 v[78:79], v[24:25], v[52:53]
	v_add_f64 v[86:87], v[26:27], v[80:81]
	v_add_f64 v[24:25], v[24:25], -v[52:53]
	v_add_f64 v[26:27], v[26:27], -v[80:81]
	ds_write2_b64 v131, v[108:109], v[94:95] offset0:44 offset1:119
	ds_write2_b64 v132, v[100:101], v[90:91] offset0:66 offset1:141
	;; [unrolled: 1-line block ×3, first 2 shown]
	ds_write2_b64 v102, v[84:85], v[72:73] offset1:75
	ds_write2_b64 v102, v[82:83], v[78:79] offset0:150 offset1:225
	ds_write2_b64 v130, v[86:87], v[42:43] offset0:44 offset1:119
	;; [unrolled: 1-line block ×4, first 2 shown]
	s_waitcnt lgkmcnt(0)
	s_barrier
	s_and_saveexec_b64 s[18:19], s[0:1]
	s_cbranch_execz .LBB0_15
; %bb.14:
	v_lshlrev_b32_e32 v102, 2, v190
	v_lshlrev_b64 v[24:25], 4, v[102:103]
	v_mov_b32_e32 v86, s13
	v_add_co_u32_e32 v91, vcc, s12, v24
	v_addc_co_u32_e32 v92, vcc, v86, v25, vcc
	v_lshlrev_b32_e32 v102, 2, v189
	v_add_co_u32_e32 v28, vcc, 0x2eb0, v91
	v_lshlrev_b64 v[42:43], 4, v[102:103]
	v_addc_co_u32_e32 v29, vcc, 0, v92, vcc
	v_add_co_u32_e32 v72, vcc, s12, v42
	s_movk_i32 s1, 0x2eb0
	v_addc_co_u32_e32 v73, vcc, v86, v43, vcc
	v_add_co_u32_e32 v42, vcc, s1, v72
	s_movk_i32 s0, 0x2000
	v_addc_co_u32_e32 v43, vcc, 0, v73, vcc
	v_add_co_u32_e32 v84, vcc, s0, v72
	v_addc_co_u32_e32 v85, vcc, 0, v73, vcc
	global_load_dwordx4 v[24:27], v[28:29], off offset:32
	global_load_dwordx4 v[52:55], v[28:29], off offset:16
	;; [unrolled: 1-line block ×6, first 2 shown]
	v_add_co_u32_e32 v42, vcc, 0x2000, v91
	v_addc_co_u32_e32 v43, vcc, 0, v92, vcc
	global_load_dwordx4 v[91:94], v[42:43], off offset:3760
	global_load_dwordx4 v[95:98], v[28:29], off offset:48
	v_mul_lo_u32 v42, s3, v168
	v_mul_lo_u32 v43, s2, v169
	v_mad_u64_u32 v[104:105], s[2:3], s2, v168, 0
	ds_read2_b64 v[106:109], v184 offset0:80 offset1:205
	ds_read2_b64 v[110:113], v183 offset0:98 offset1:223
	;; [unrolled: 1-line block ×5, first 2 shown]
	v_lshlrev_b32_e32 v102, 2, v188
	v_add3_u32 v105, v105, v43, v42
	v_lshlrev_b64 v[28:29], 4, v[102:103]
	s_waitcnt vmcnt(5)
	v_mul_f64 v[126:127], v[48:49], v[74:75]
	v_mul_f64 v[84:85], v[50:51], v[26:27]
	;; [unrolled: 1-line block ×3, first 2 shown]
	s_waitcnt lgkmcnt(4)
	v_mul_f64 v[54:55], v[108:109], v[54:55]
	s_waitcnt lgkmcnt(2)
	v_mul_f64 v[26:27], v[116:117], v[26:27]
	s_waitcnt vmcnt(4)
	v_mul_f64 v[99:100], v[38:39], v[78:79]
	s_waitcnt vmcnt(3)
	;; [unrolled: 2-line block ×4, first 2 shown]
	v_mul_f64 v[132:133], v[36:37], v[97:98]
	v_mul_f64 v[128:129], v[34:35], v[89:90]
	;; [unrolled: 1-line block ×5, first 2 shown]
	s_waitcnt lgkmcnt(1)
	v_mul_f64 v[89:90], v[118:119], v[89:90]
	v_mul_f64 v[93:94], v[112:113], v[93:94]
	;; [unrolled: 1-line block ×3, first 2 shown]
	v_fma_f64 v[42:43], v[52:53], v[108:109], -v[42:43]
	v_fma_f64 v[84:85], v[24:25], v[116:117], -v[84:85]
	v_fma_f64 v[40:41], v[40:41], v[52:53], v[54:55]
	v_fma_f64 v[50:51], v[50:51], v[24:25], v[26:27]
	v_fma_f64 v[24:25], v[91:92], v[112:113], -v[130:131]
	v_fma_f64 v[26:27], v[95:96], v[120:121], -v[132:133]
	;; [unrolled: 1-line block ×6, first 2 shown]
	v_fma_f64 v[116:117], v[38:39], v[76:77], v[78:79]
	v_fma_f64 v[74:75], v[48:49], v[72:73], v[74:75]
	;; [unrolled: 1-line block ×6, first 2 shown]
	v_add_f64 v[34:35], v[42:43], v[84:85]
	v_add_f64 v[38:39], v[40:41], v[50:51]
	v_add_f64 v[87:88], v[24:25], v[26:27]
	v_add_f64 v[32:33], v[40:41], -v[50:51]
	v_add_f64 v[78:79], v[54:55], v[114:115]
	v_add_f64 v[80:81], v[42:43], -v[24:25]
	v_add_f64 v[82:83], v[84:85], -v[26:27]
	;; [unrolled: 1-line block ×6, first 2 shown]
	v_add_f64 v[106:107], v[30:31], v[72:73]
	v_add_f64 v[108:109], v[30:31], -v[40:41]
	v_add_f64 v[112:113], v[46:47], v[30:31]
	s_waitcnt lgkmcnt(0)
	v_fma_f64 v[30:31], v[34:35], -0.5, v[124:125]
	v_fma_f64 v[34:35], v[38:39], -0.5, v[46:47]
	;; [unrolled: 1-line block ×3, first 2 shown]
	v_add_f64 v[95:96], v[24:25], v[124:125]
	v_fma_f64 v[118:119], v[78:79], -0.5, v[122:123]
	v_add_f64 v[78:79], v[80:81], v[82:83]
	v_add_f64 v[80:81], v[91:92], v[93:94]
	v_add_f64 v[36:37], v[42:43], -v[84:85]
	v_fma_f64 v[82:83], v[89:90], s[4:5], v[30:31]
	v_fma_f64 v[30:31], v[89:90], s[14:15], v[30:31]
	;; [unrolled: 1-line block ×3, first 2 shown]
	v_add_f64 v[101:102], v[50:51], -v[72:73]
	v_add_f64 v[24:25], v[24:25], -v[26:27]
	v_add_f64 v[42:43], v[42:43], v[95:96]
	v_fma_f64 v[38:39], v[32:33], s[4:5], v[38:39]
	v_fma_f64 v[46:47], v[106:107], -0.5, v[46:47]
	v_fma_f64 v[82:83], v[32:33], s[8:9], v[82:83]
	v_fma_f64 v[30:31], v[32:33], s[16:17], v[30:31]
	;; [unrolled: 1-line block ×3, first 2 shown]
	v_add_f64 v[95:96], v[97:98], v[101:102]
	v_fma_f64 v[87:88], v[24:25], s[14:15], v[34:35]
	v_fma_f64 v[101:102], v[24:25], s[4:5], v[34:35]
	v_add_f64 v[34:35], v[84:85], v[42:43]
	v_fma_f64 v[89:90], v[89:90], s[16:17], v[38:39]
	v_add_f64 v[110:111], v[72:73], -v[50:51]
	v_fma_f64 v[84:85], v[36:37], s[4:5], v[46:47]
	v_fma_f64 v[38:39], v[80:81], s[6:7], v[30:31]
	;; [unrolled: 1-line block ×3, first 2 shown]
	v_add_co_u32_e32 v32, vcc, s12, v28
	v_addc_co_u32_e32 v33, vcc, v86, v29, vcc
	v_add_co_u32_e32 v28, vcc, s0, v32
	v_addc_co_u32_e32 v29, vcc, 0, v33, vcc
	v_add_f64 v[42:43], v[26:27], v[34:35]
	v_fma_f64 v[26:27], v[80:81], s[6:7], v[82:83]
	v_fma_f64 v[34:35], v[78:79], s[6:7], v[89:90]
	global_load_dwordx4 v[78:81], v[28:29], off offset:3760
	v_add_co_u32_e32 v28, vcc, s1, v32
	v_addc_co_u32_e32 v29, vcc, 0, v33, vcc
	v_add_f64 v[97:98], v[108:109], v[110:111]
	v_fma_f64 v[106:107], v[36:37], s[16:17], v[87:88]
	v_fma_f64 v[108:109], v[24:25], s[16:17], v[84:85]
	global_load_dwordx4 v[82:85], v[28:29], off offset:48
	global_load_dwordx4 v[87:90], v[28:29], off offset:32
	;; [unrolled: 1-line block ×3, first 2 shown]
	v_fma_f64 v[46:47], v[36:37], s[14:15], v[46:47]
	v_fma_f64 v[36:37], v[36:37], s[8:9], v[101:102]
	v_add_f64 v[101:102], v[52:53], v[99:100]
	v_add_f64 v[76:77], v[116:117], -v[74:75]
	v_add_f64 v[40:41], v[40:41], v[112:113]
	v_add_f64 v[110:111], v[99:100], -v[114:115]
	v_add_f64 v[120:121], v[48:49], -v[134:135]
	v_fma_f64 v[28:29], v[95:96], s[6:7], v[108:109]
	v_fma_f64 v[24:25], v[24:25], s[8:9], v[46:47]
	v_add_f64 v[46:47], v[52:53], -v[54:55]
	v_fma_f64 v[36:37], v[97:98], s[6:7], v[36:37]
	v_fma_f64 v[112:113], v[76:77], s[14:15], v[118:119]
	v_add_f64 v[40:41], v[40:41], v[50:51]
	v_add_f64 v[108:109], v[114:115], -v[99:100]
	v_add_f64 v[130:131], v[48:49], -v[116:117]
	;; [unrolled: 1-line block ×3, first 2 shown]
	v_fma_f64 v[32:33], v[95:96], s[6:7], v[24:25]
	v_fma_f64 v[95:96], v[101:102], -0.5, v[122:123]
	v_add_f64 v[101:102], v[48:49], v[134:135]
	v_fma_f64 v[24:25], v[97:98], s[6:7], v[106:107]
	v_add_f64 v[46:47], v[46:47], v[110:111]
	v_fma_f64 v[97:98], v[76:77], s[4:5], v[118:119]
	v_add_f64 v[106:107], v[54:55], -v[52:53]
	v_add_f64 v[118:119], v[52:53], -v[99:100]
	v_fma_f64 v[50:51], v[120:121], s[8:9], v[112:113]
	v_fma_f64 v[110:111], v[120:121], s[4:5], v[95:96]
	v_fma_f64 v[101:102], v[101:102], -0.5, v[44:45]
	v_add_f64 v[40:41], v[40:41], v[72:73]
	v_add_f64 v[72:73], v[54:55], v[122:123]
	v_fma_f64 v[97:98], v[120:121], s[16:17], v[97:98]
	v_add_f64 v[122:123], v[106:107], v[108:109]
	v_fma_f64 v[95:96], v[120:121], s[14:15], v[95:96]
	v_add_f64 v[120:121], v[54:55], -v[114:115]
	v_fma_f64 v[106:107], v[76:77], s[8:9], v[110:111]
	v_fma_f64 v[110:111], v[118:119], s[4:5], v[101:102]
	;; [unrolled: 1-line block ×3, first 2 shown]
	v_add_f64 v[52:53], v[52:53], v[72:73]
	v_add_f64 v[72:73], v[116:117], -v[48:49]
	v_add_f64 v[108:109], v[74:75], -v[134:135]
	v_fma_f64 v[54:55], v[46:47], s[6:7], v[97:98]
	v_add_f64 v[97:98], v[116:117], v[74:75]
	v_fma_f64 v[76:77], v[76:77], s[16:17], v[95:96]
	v_fma_f64 v[126:127], v[120:121], s[16:17], v[110:111]
	;; [unrolled: 1-line block ×3, first 2 shown]
	v_lshlrev_b32_e32 v102, 2, v187
	v_lshlrev_b64 v[95:96], 4, v[102:103]
	v_fma_f64 v[50:51], v[46:47], s[6:7], v[50:51]
	v_add_co_u32_e32 v95, vcc, s12, v95
	v_addc_co_u32_e32 v96, vcc, v86, v96, vcc
	v_add_co_u32_e32 v110, vcc, s1, v95
	v_addc_co_u32_e32 v111, vcc, 0, v96, vcc
	;; [unrolled: 2-line block ×3, first 2 shown]
	v_fma_f64 v[46:47], v[122:123], s[6:7], v[106:107]
	v_add_f64 v[52:53], v[99:100], v[52:53]
	v_add_f64 v[124:125], v[72:73], v[108:109]
	v_fma_f64 v[72:73], v[97:98], -0.5, v[44:45]
	global_load_dwordx4 v[95:98], v[95:96], off offset:3760
	s_nop 0
	global_load_dwordx4 v[99:102], v[110:111], off offset:32
	global_load_dwordx4 v[106:109], v[110:111], off offset:16
	v_add_f64 v[44:45], v[44:45], v[48:49]
	global_load_dwordx4 v[110:113], v[110:111], off offset:48
	v_add_f64 v[130:131], v[130:131], v[132:133]
	v_fma_f64 v[48:49], v[124:125], s[6:7], v[126:127]
	v_fma_f64 v[136:137], v[120:121], s[14:15], v[72:73]
	v_fma_f64 v[120:121], v[120:121], s[4:5], v[72:73]
	s_waitcnt vmcnt(7)
	v_mul_f64 v[138:139], v[58:59], v[80:81]
	v_fma_f64 v[72:73], v[122:123], s[6:7], v[76:77]
	v_add_f64 v[76:77], v[114:115], v[52:53]
	v_fma_f64 v[52:53], v[124:125], s[6:7], v[128:129]
	v_add_f64 v[44:45], v[116:117], v[44:45]
	s_waitcnt vmcnt(6)
	v_mul_f64 v[140:141], v[62:63], v[84:85]
	v_fma_f64 v[132:133], v[118:119], s[16:17], v[136:137]
	v_fma_f64 v[136:137], v[118:119], s[8:9], v[120:121]
	ds_read2_b64 v[114:117], v180 offset0:86 offset1:211
	ds_read2_b64 v[118:121], v177 offset0:104 offset1:229
	;; [unrolled: 1-line block ×4, first 2 shown]
	s_waitcnt vmcnt(4)
	v_mul_f64 v[142:143], v[66:67], v[93:94]
	v_mul_f64 v[144:145], v[70:71], v[89:90]
	s_waitcnt lgkmcnt(3)
	v_mul_f64 v[93:94], v[116:117], v[93:94]
	s_waitcnt lgkmcnt(2)
	v_fma_f64 v[138:139], v[78:79], v[120:121], -v[138:139]
	s_waitcnt lgkmcnt(1)
	v_mul_f64 v[89:90], v[124:125], v[89:90]
	s_waitcnt lgkmcnt(0)
	v_fma_f64 v[140:141], v[82:83], v[128:129], -v[140:141]
	v_add_f64 v[74:75], v[44:45], v[74:75]
	v_mul_f64 v[44:45], v[120:121], v[80:81]
	v_fma_f64 v[116:117], v[91:92], v[116:117], -v[142:143]
	v_mul_f64 v[80:81], v[128:129], v[84:85]
	v_fma_f64 v[84:85], v[87:88], v[124:125], -v[144:145]
	v_fma_f64 v[91:92], v[66:67], v[91:92], v[93:94]
	v_fma_f64 v[93:94], v[70:71], v[87:88], v[89:90]
	v_add_f64 v[66:67], v[138:139], v[140:141]
	ds_read2_b64 v[87:90], v176 offset0:122 offset1:247
	v_fma_f64 v[78:79], v[58:59], v[78:79], v[44:45]
	v_add_f64 v[120:121], v[116:117], -v[138:139]
	v_fma_f64 v[82:83], v[62:63], v[82:83], v[80:81]
	v_add_f64 v[58:59], v[116:117], v[84:85]
	v_add_f64 v[62:63], v[84:85], -v[140:141]
	v_add_f64 v[80:81], v[91:92], -v[93:94]
	s_waitcnt lgkmcnt(0)
	v_fma_f64 v[66:67], v[66:67], -0.5, v[89:90]
	v_fma_f64 v[44:45], v[130:131], s[6:7], v[132:133]
	v_fma_f64 v[70:71], v[130:131], s[6:7], v[136:137]
	v_add_f64 v[74:75], v[74:75], v[134:135]
	v_add_f64 v[124:125], v[78:79], -v[82:83]
	v_fma_f64 v[58:59], v[58:59], -0.5, v[89:90]
	v_add_f64 v[120:121], v[120:121], v[62:63]
	v_add_f64 v[62:63], v[138:139], v[89:90]
	v_fma_f64 v[89:90], v[80:81], s[14:15], v[66:67]
	v_fma_f64 v[66:67], v[80:81], s[4:5], v[66:67]
	v_add_f64 v[128:129], v[78:79], v[82:83]
	v_add_f64 v[130:131], v[138:139], -v[116:117]
	v_add_f64 v[132:133], v[140:141], -v[84:85]
	v_fma_f64 v[134:135], v[124:125], s[4:5], v[58:59]
	v_fma_f64 v[58:59], v[124:125], s[14:15], v[58:59]
	v_add_f64 v[62:63], v[116:117], v[62:63]
	v_fma_f64 v[89:90], v[124:125], s[8:9], v[89:90]
	v_fma_f64 v[66:67], v[124:125], s[16:17], v[66:67]
	v_fma_f64 v[124:125], v[128:129], -0.5, v[22:23]
	v_add_f64 v[128:129], v[116:117], -v[84:85]
	v_add_f64 v[116:117], v[130:131], v[132:133]
	v_fma_f64 v[130:131], v[80:81], s[8:9], v[134:135]
	v_add_f64 v[136:137], v[138:139], -v[140:141]
	v_fma_f64 v[80:81], v[80:81], s[16:17], v[58:59]
	v_add_f64 v[132:133], v[91:92], -v[78:79]
	v_add_f64 v[134:135], v[93:94], -v[82:83]
	v_add_f64 v[84:85], v[84:85], v[62:63]
	v_fma_f64 v[138:139], v[128:129], s[4:5], v[124:125]
	v_fma_f64 v[62:63], v[120:121], s[6:7], v[89:90]
	;; [unrolled: 1-line block ×5, first 2 shown]
	v_add_f64 v[116:117], v[91:92], v[93:94]
	v_add_f64 v[124:125], v[132:133], v[134:135]
	v_fma_f64 v[66:67], v[120:121], s[6:7], v[66:67]
	v_fma_f64 v[130:131], v[136:137], s[16:17], v[138:139]
	v_add_f64 v[84:85], v[140:141], v[84:85]
	v_add_f64 v[132:133], v[78:79], -v[91:92]
	s_waitcnt vmcnt(3)
	v_mul_f64 v[120:121], v[56:57], v[97:98]
	s_waitcnt vmcnt(2)
	v_mul_f64 v[138:139], v[122:123], v[101:102]
	v_mul_f64 v[101:102], v[68:69], v[101:102]
	s_waitcnt vmcnt(1)
	v_mul_f64 v[134:135], v[114:115], v[108:109]
	v_mul_f64 v[108:109], v[64:65], v[108:109]
	s_waitcnt vmcnt(0)
	v_mul_f64 v[140:141], v[60:61], v[112:113]
	v_fma_f64 v[116:117], v[116:117], -0.5, v[22:23]
	v_fma_f64 v[89:90], v[136:137], s[8:9], v[89:90]
	v_fma_f64 v[144:145], v[95:96], v[118:119], -v[120:121]
	v_fma_f64 v[68:69], v[68:69], v[99:100], v[138:139]
	v_fma_f64 v[99:100], v[99:100], v[122:123], -v[101:102]
	v_lshlrev_b32_e32 v102, 2, v181
	v_lshlrev_b64 v[101:102], 4, v[102:103]
	v_fma_f64 v[156:157], v[64:65], v[106:107], v[134:135]
	v_fma_f64 v[138:139], v[106:107], v[114:115], -v[108:109]
	v_add_co_u32_e32 v106, vcc, s12, v101
	v_addc_co_u32_e32 v107, vcc, v86, v102, vcc
	v_add_co_u32_e32 v101, vcc, s1, v106
	v_addc_co_u32_e32 v102, vcc, 0, v107, vcc
	;; [unrolled: 2-line block ×3, first 2 shown]
	v_fma_f64 v[134:135], v[110:111], v[126:127], -v[140:141]
	v_fma_f64 v[64:65], v[136:137], s[14:15], v[116:117]
	v_fma_f64 v[136:137], v[136:137], s[4:5], v[116:117]
	v_mul_f64 v[97:98], v[118:119], v[97:98]
	v_mul_f64 v[126:127], v[126:127], v[112:113]
	global_load_dwordx4 v[106:109], v[106:107], off offset:3760
	s_nop 0
	global_load_dwordx4 v[112:115], v[101:102], off offset:32
	global_load_dwordx4 v[116:119], v[101:102], off offset:16
	global_load_dwordx4 v[120:123], v[101:102], off offset:48
	v_add_f64 v[142:143], v[82:83], -v[93:94]
	v_add_f64 v[22:23], v[22:23], v[78:79]
	v_add_f64 v[78:79], v[144:145], v[134:135]
	v_add_f64 v[140:141], v[156:157], -v[68:69]
	v_fma_f64 v[146:147], v[56:57], v[95:96], v[97:98]
	v_fma_f64 v[158:159], v[60:61], v[110:111], v[126:127]
	v_add_f64 v[95:96], v[99:100], -v[134:135]
	v_add_f64 v[101:102], v[138:139], v[99:100]
	v_add_f64 v[132:133], v[132:133], v[142:143]
	;; [unrolled: 1-line block ×3, first 2 shown]
	v_fma_f64 v[142:143], v[78:79], -0.5, v[87:88]
	v_add_f64 v[91:92], v[138:139], -v[144:145]
	v_fma_f64 v[56:57], v[128:129], s[16:17], v[64:65]
	v_add_f64 v[110:111], v[146:147], -v[158:159]
	v_fma_f64 v[64:65], v[124:125], s[6:7], v[89:90]
	v_fma_f64 v[60:61], v[124:125], s[6:7], v[130:131]
	v_add_f64 v[124:125], v[134:135], -v[99:100]
	v_add_f64 v[22:23], v[22:23], v[93:94]
	v_fma_f64 v[97:98], v[140:141], s[14:15], v[142:143]
	v_add_f64 v[90:91], v[91:92], v[95:96]
	v_fma_f64 v[92:93], v[101:102], -0.5, v[87:88]
	v_add_f64 v[87:88], v[144:145], v[87:88]
	v_add_f64 v[101:102], v[144:145], -v[138:139]
	v_add_f64 v[126:127], v[146:147], v[158:159]
	v_fma_f64 v[78:79], v[128:129], s[8:9], v[136:137]
	v_add_f64 v[82:83], v[22:23], v[82:83]
	v_fma_f64 v[94:95], v[110:111], s[8:9], v[97:98]
	v_fma_f64 v[96:97], v[140:141], s[4:5], v[142:143]
	;; [unrolled: 1-line block ×4, first 2 shown]
	v_add_f64 v[128:129], v[138:139], v[87:88]
	v_add_f64 v[130:131], v[68:69], -v[158:159]
	v_fma_f64 v[56:57], v[132:133], s[6:7], v[56:57]
	v_fma_f64 v[78:79], v[132:133], s[6:7], v[78:79]
	v_fma_f64 v[88:89], v[90:91], s[6:7], v[94:95]
	v_fma_f64 v[94:95], v[110:111], s[16:17], v[96:97]
	v_add_f64 v[96:97], v[101:102], v[124:125]
	v_fma_f64 v[101:102], v[126:127], -0.5, v[20:21]
	v_add_f64 v[110:111], v[138:139], -v[99:100]
	v_fma_f64 v[22:23], v[140:141], s[8:9], v[22:23]
	v_fma_f64 v[124:125], v[140:141], s[16:17], v[92:93]
	v_add_f64 v[98:99], v[99:100], v[128:129]
	v_add_f64 v[128:129], v[156:157], -v[146:147]
	v_add_f64 v[126:127], v[156:157], v[68:69]
	v_add_f64 v[160:161], v[144:145], -v[134:135]
	v_fma_f64 v[92:93], v[90:91], s[6:7], v[94:95]
	v_fma_f64 v[132:133], v[110:111], s[4:5], v[101:102]
	;; [unrolled: 1-line block ×3, first 2 shown]
	v_lshlrev_b32_e32 v102, 2, v170
	v_fma_f64 v[22:23], v[96:97], s[6:7], v[22:23]
	v_fma_f64 v[96:97], v[96:97], s[6:7], v[124:125]
	v_lshlrev_b64 v[124:125], 4, v[102:103]
	v_add_f64 v[90:91], v[128:129], v[130:131]
	v_add_co_u32_e32 v102, vcc, s12, v124
	v_addc_co_u32_e32 v128, vcc, v86, v125, vcc
	v_add_co_u32_e32 v86, vcc, s0, v102
	v_addc_co_u32_e32 v87, vcc, 0, v128, vcc
	v_fma_f64 v[94:95], v[126:127], -0.5, v[20:21]
	global_load_dwordx4 v[124:127], v[86:87], off offset:3760
	v_add_co_u32_e32 v86, vcc, s1, v102
	v_addc_co_u32_e32 v87, vcc, 0, v128, vcc
	v_add_f64 v[100:101], v[134:135], v[98:99]
	v_fma_f64 v[98:99], v[160:161], s[16:17], v[132:133]
	v_fma_f64 v[140:141], v[160:161], s[8:9], v[136:137]
	global_load_dwordx4 v[128:131], v[86:87], off offset:48
	global_load_dwordx4 v[132:135], v[86:87], off offset:32
	;; [unrolled: 1-line block ×3, first 2 shown]
	v_add_f64 v[142:143], v[146:147], -v[156:157]
	v_add_f64 v[144:145], v[158:159], -v[68:69]
	v_fma_f64 v[148:149], v[160:161], s[14:15], v[94:95]
	v_add_f64 v[20:21], v[20:21], v[146:147]
	ds_read2_b64 v[152:155], v174 offset0:56 offset1:181
	v_fma_f64 v[86:87], v[90:91], s[6:7], v[98:99]
	v_fma_f64 v[90:91], v[90:91], s[6:7], v[140:141]
	s_waitcnt vmcnt(7)
	v_mul_f64 v[164:165], v[6:7], v[108:109]
	s_waitcnt vmcnt(5)
	v_mul_f64 v[168:169], v[14:15], v[118:119]
	v_add_f64 v[98:99], v[142:143], v[144:145]
	v_fma_f64 v[162:163], v[110:111], s[16:17], v[148:149]
	ds_read2_b64 v[140:143], v175 offset0:92 offset1:217
	ds_read2_b64 v[144:147], v172 offset0:110 offset1:235
	s_waitcnt vmcnt(4)
	v_mul_f64 v[175:176], v[10:11], v[122:123]
	ds_read2_b64 v[148:151], v173 offset0:74 offset1:199
	v_mul_f64 v[172:173], v[18:19], v[114:115]
	v_fma_f64 v[94:95], v[160:161], s[4:5], v[94:95]
	s_waitcnt lgkmcnt(1)
	v_fma_f64 v[160:161], v[106:107], v[146:147], -v[164:165]
	v_mul_f64 v[118:119], v[142:143], v[118:119]
	s_waitcnt lgkmcnt(0)
	v_mul_f64 v[114:115], v[150:151], v[114:115]
	v_fma_f64 v[142:143], v[116:117], v[142:143], -v[168:169]
	v_fma_f64 v[164:165], v[120:121], v[154:155], -v[175:176]
	v_mul_f64 v[146:147], v[146:147], v[108:109]
	v_fma_f64 v[150:151], v[112:113], v[150:151], -v[172:173]
	v_mul_f64 v[122:123], v[154:155], v[122:123]
	v_add_f64 v[20:21], v[156:157], v[20:21]
	v_fma_f64 v[116:117], v[14:15], v[116:117], v[118:119]
	v_fma_f64 v[114:115], v[18:19], v[112:113], v[114:115]
	;; [unrolled: 1-line block ×3, first 2 shown]
	v_add_f64 v[14:15], v[160:161], v[164:165]
	v_fma_f64 v[106:107], v[6:7], v[106:107], v[146:147]
	v_add_f64 v[6:7], v[142:143], v[150:151]
	v_fma_f64 v[118:119], v[10:11], v[120:121], v[122:123]
	ds_read2_b64 v[108:111], v171 offset1:125
	v_add_f64 v[68:69], v[20:21], v[68:69]
	v_add_f64 v[10:11], v[116:117], -v[114:115]
	v_fma_f64 v[94:95], v[98:99], s[6:7], v[18:19]
	v_add_f64 v[18:19], v[142:143], -v[160:161]
	s_waitcnt lgkmcnt(0)
	v_fma_f64 v[14:15], v[14:15], -0.5, v[110:111]
	v_add_f64 v[112:113], v[150:151], -v[164:165]
	v_add_f64 v[120:121], v[106:107], -v[118:119]
	v_fma_f64 v[6:7], v[6:7], -0.5, v[110:111]
	v_add_f64 v[122:123], v[106:107], v[118:119]
	v_fma_f64 v[20:21], v[98:99], s[6:7], v[162:163]
	v_add_f64 v[98:99], v[68:69], v[158:159]
	v_add_f64 v[146:147], v[160:161], -v[142:143]
	v_fma_f64 v[68:69], v[10:11], s[14:15], v[14:15]
	v_fma_f64 v[14:15], v[10:11], s[4:5], v[14:15]
	v_add_f64 v[154:155], v[164:165], -v[150:151]
	v_add_f64 v[18:19], v[18:19], v[112:113]
	v_fma_f64 v[112:113], v[120:121], s[4:5], v[6:7]
	v_add_f64 v[110:111], v[160:161], v[110:111]
	v_fma_f64 v[122:123], v[122:123], -0.5, v[2:3]
	v_add_f64 v[156:157], v[142:143], -v[150:151]
	v_fma_f64 v[68:69], v[120:121], s[8:9], v[68:69]
	v_fma_f64 v[14:15], v[120:121], s[16:17], v[14:15]
	v_add_f64 v[146:147], v[146:147], v[154:155]
	v_fma_f64 v[6:7], v[120:121], s[14:15], v[6:7]
	v_fma_f64 v[120:121], v[10:11], s[8:9], v[112:113]
	v_add_f64 v[110:111], v[142:143], v[110:111]
	v_add_f64 v[142:143], v[116:117], -v[106:107]
	v_add_f64 v[154:155], v[114:115], -v[118:119]
	;; [unrolled: 1-line block ×3, first 2 shown]
	v_fma_f64 v[160:161], v[156:157], s[4:5], v[122:123]
	v_fma_f64 v[112:113], v[18:19], s[6:7], v[68:69]
	;; [unrolled: 1-line block ×5, first 2 shown]
	v_add_f64 v[18:19], v[116:117], v[114:115]
	v_add_f64 v[110:111], v[150:151], v[110:111]
	v_add_f64 v[120:121], v[142:143], v[154:155]
	v_fma_f64 v[142:143], v[158:159], s[16:17], v[160:161]
	s_waitcnt vmcnt(3)
	v_mul_f64 v[154:155], v[4:5], v[126:127]
	v_fma_f64 v[122:123], v[156:157], s[14:15], v[122:123]
	v_fma_f64 v[14:15], v[146:147], s[6:7], v[68:69]
	v_add_f64 v[68:69], v[106:107], -v[116:117]
	v_fma_f64 v[150:151], v[18:19], -0.5, v[2:3]
	v_add_f64 v[18:19], v[164:165], v[110:111]
	s_waitcnt vmcnt(1)
	v_mul_f64 v[162:163], v[16:17], v[134:135]
	v_fma_f64 v[110:111], v[120:121], s[6:7], v[142:143]
	v_mul_f64 v[142:143], v[8:9], v[130:131]
	s_waitcnt vmcnt(0)
	v_mul_f64 v[160:161], v[12:13], v[138:139]
	v_fma_f64 v[154:155], v[124:125], v[144:145], -v[154:155]
	v_mul_f64 v[138:139], v[140:141], v[138:139]
	v_mul_f64 v[134:135], v[148:149], v[134:135]
	v_add_f64 v[146:147], v[118:119], -v[114:115]
	v_mul_f64 v[126:127], v[144:145], v[126:127]
	v_mul_f64 v[130:131], v[152:153], v[130:131]
	v_fma_f64 v[142:143], v[128:129], v[152:153], -v[142:143]
	v_fma_f64 v[140:141], v[136:137], v[140:141], -v[160:161]
	v_fma_f64 v[144:145], v[132:133], v[148:149], -v[162:163]
	v_fma_f64 v[136:137], v[12:13], v[136:137], v[138:139]
	v_fma_f64 v[132:133], v[16:17], v[132:133], v[134:135]
	v_fma_f64 v[122:123], v[158:159], s[8:9], v[122:123]
	v_add_f64 v[68:69], v[68:69], v[146:147]
	v_fma_f64 v[146:147], v[158:159], s[14:15], v[150:151]
	v_add_f64 v[12:13], v[154:155], v[142:143]
	v_fma_f64 v[16:17], v[158:159], s[4:5], v[150:151]
	v_fma_f64 v[124:125], v[4:5], v[124:125], v[126:127]
	;; [unrolled: 1-line block ×3, first 2 shown]
	v_add_f64 v[128:129], v[140:141], v[144:145]
	v_add_f64 v[2:3], v[2:3], v[106:107]
	v_add_f64 v[106:107], v[136:137], -v[132:133]
	v_fma_f64 v[146:147], v[156:157], s[16:17], v[146:147]
	v_fma_f64 v[12:13], v[12:13], -0.5, v[108:109]
	v_fma_f64 v[4:5], v[120:121], s[6:7], v[122:123]
	v_fma_f64 v[16:17], v[156:157], s[8:9], v[16:17]
	v_add_f64 v[120:121], v[124:125], -v[126:127]
	v_fma_f64 v[122:123], v[128:129], -0.5, v[108:109]
	v_add_f64 v[2:3], v[116:117], v[2:3]
	v_add_f64 v[116:117], v[140:141], -v[154:155]
	v_add_f64 v[128:129], v[144:145], -v[142:143]
	v_fma_f64 v[130:131], v[106:107], s[14:15], v[12:13]
	v_fma_f64 v[134:135], v[106:107], s[4:5], v[12:13]
	;; [unrolled: 1-line block ×3, first 2 shown]
	v_add_f64 v[138:139], v[154:155], -v[140:141]
	v_add_f64 v[146:147], v[142:143], -v[144:145]
	v_fma_f64 v[148:149], v[120:121], s[4:5], v[122:123]
	v_fma_f64 v[12:13], v[68:69], s[6:7], v[16:17]
	v_add_f64 v[2:3], v[2:3], v[114:115]
	v_add_f64 v[68:69], v[116:117], v[128:129]
	;; [unrolled: 1-line block ×3, first 2 shown]
	v_fma_f64 v[114:115], v[120:121], s[8:9], v[130:131]
	v_fma_f64 v[116:117], v[120:121], s[16:17], v[134:135]
	v_add_f64 v[134:135], v[124:125], v[126:127]
	v_add_f64 v[128:129], v[138:139], v[146:147]
	v_fma_f64 v[130:131], v[106:107], s[8:9], v[148:149]
	v_add_f64 v[16:17], v[2:3], v[118:119]
	v_fma_f64 v[118:119], v[120:121], s[14:15], v[122:123]
	;; [unrolled: 2-line block ×3, first 2 shown]
	v_fma_f64 v[108:109], v[68:69], s[6:7], v[116:117]
	v_fma_f64 v[68:69], v[134:135], -0.5, v[0:1]
	v_add_f64 v[122:123], v[140:141], -v[144:145]
	v_add_f64 v[114:115], v[136:137], v[132:133]
	v_fma_f64 v[116:117], v[128:129], s[6:7], v[130:131]
	v_fma_f64 v[106:107], v[106:107], s[16:17], v[118:119]
	v_add_f64 v[118:119], v[144:145], v[120:121]
	v_add_f64 v[120:121], v[154:155], -v[142:143]
	v_add_f64 v[130:131], v[136:137], -v[124:125]
	v_add_f64 v[134:135], v[132:133], -v[126:127]
	v_fma_f64 v[138:139], v[122:123], s[4:5], v[68:69]
	v_fma_f64 v[68:69], v[122:123], s[14:15], v[68:69]
	v_fma_f64 v[114:115], v[114:115], -0.5, v[0:1]
	v_add_f64 v[0:1], v[0:1], v[124:125]
	v_add_f64 v[124:125], v[124:125], -v[136:137]
	v_add_f64 v[140:141], v[126:127], -v[132:133]
	s_mov_b32 s1, 0x57619f1
	v_add_f64 v[130:131], v[130:131], v[134:135]
	v_fma_f64 v[134:135], v[120:121], s[16:17], v[138:139]
	v_fma_f64 v[68:69], v[120:121], s[8:9], v[68:69]
	;; [unrolled: 1-line block ×4, first 2 shown]
	v_add_f64 v[0:1], v[136:137], v[0:1]
	v_fma_f64 v[120:121], v[128:129], s[6:7], v[106:107]
	v_add_f64 v[128:129], v[124:125], v[140:141]
	v_add_f64 v[124:125], v[142:143], v[118:119]
	v_fma_f64 v[106:107], v[130:131], s[6:7], v[68:69]
	v_mul_hi_u32 v68, v170, s1
	v_fma_f64 v[136:137], v[122:123], s[16:17], v[144:145]
	v_fma_f64 v[122:123], v[122:123], s[8:9], v[114:115]
	v_add_f64 v[132:133], v[0:1], v[132:133]
	v_lshrrev_b32_e32 v68, 4, v68
	v_mul_u32_u24_e32 v68, 0x2ee, v68
	v_sub_u32_e32 v102, v170, v68
	v_lshlrev_b64 v[68:69], 4, v[104:105]
	v_mov_b32_e32 v104, s11
	v_add_co_u32_e32 v105, vcc, s10, v68
	v_fma_f64 v[118:119], v[128:129], s[6:7], v[122:123]
	v_addc_co_u32_e32 v104, vcc, v104, v69, vcc
	v_lshlrev_b64 v[68:69], 4, v[166:167]
	v_add_f64 v[122:123], v[132:133], v[126:127]
	v_add_co_u32_e32 v126, vcc, v105, v68
	v_addc_co_u32_e32 v127, vcc, v104, v69, vcc
	v_lshlrev_b32_e32 v68, 4, v102
	v_fma_f64 v[0:1], v[130:131], s[6:7], v[134:135]
	v_add_co_u32_e32 v68, vcc, v126, v68
	v_addc_co_u32_e32 v69, vcc, 0, v127, vcc
	v_add_co_u32_e32 v104, vcc, s0, v68
	v_addc_co_u32_e32 v105, vcc, 0, v69, vcc
	s_movk_i32 s0, 0x5000
	global_store_dwordx4 v[104:105], v[118:121], off offset:3808
	v_add_co_u32_e32 v104, vcc, s0, v68
	v_fma_f64 v[114:115], v[128:129], s[6:7], v[136:137]
	v_addc_co_u32_e32 v105, vcc, 0, v69, vcc
	s_mov_b32 s0, 0x8000
	global_store_dwordx4 v[104:105], v[106:109], off offset:3520
	v_add_co_u32_e32 v104, vcc, s0, v68
	v_addc_co_u32_e32 v105, vcc, 0, v69, vcc
	global_store_dwordx4 v[104:105], v[0:3], off offset:3232
	s_mov_b32 s0, 0xb000
	v_add_u32_e32 v2, 0x7d, v170
	v_mul_hi_u32 v3, v2, s1
	v_add_co_u32_e32 v0, vcc, s0, v68
	v_addc_co_u32_e32 v1, vcc, 0, v69, vcc
	global_store_dwordx4 v[0:1], v[114:117], off offset:2944
	v_lshrrev_b32_e32 v0, 4, v3
	v_mul_u32_u24_e32 v1, 0x2ee, v0
	v_sub_u32_e32 v1, v2, v1
	s_movk_i32 s0, 0xea6
	v_mad_u32_u24 v102, v0, s0, v1
	v_lshlrev_b64 v[0:1], 4, v[102:103]
	global_store_dwordx4 v[68:69], v[122:125], off
	v_add_co_u32_e32 v0, vcc, v126, v0
	v_addc_co_u32_e32 v1, vcc, v127, v1, vcc
	global_store_dwordx4 v[0:1], v[16:19], off
	v_add_u32_e32 v0, 0x2ee, v102
	v_mov_b32_e32 v1, v103
	v_lshlrev_b64 v[0:1], 4, v[0:1]
	v_add_u32_e32 v2, 0xfa, v170
	v_add_co_u32_e32 v0, vcc, v126, v0
	v_addc_co_u32_e32 v1, vcc, v127, v1, vcc
	global_store_dwordx4 v[0:1], v[12:15], off
	v_add_u32_e32 v0, 0x5dc, v102
	v_mov_b32_e32 v1, v103
	v_lshlrev_b64 v[0:1], 4, v[0:1]
	v_mul_hi_u32 v3, v2, s1
	v_add_co_u32_e32 v0, vcc, v126, v0
	v_addc_co_u32_e32 v1, vcc, v127, v1, vcc
	global_store_dwordx4 v[0:1], v[4:7], off
	v_add_u32_e32 v0, 0x8ca, v102
	v_mov_b32_e32 v1, v103
	v_lshlrev_b64 v[0:1], 4, v[0:1]
	v_add_u32_e32 v102, 0xbb8, v102
	v_add_co_u32_e32 v0, vcc, v126, v0
	v_addc_co_u32_e32 v1, vcc, v127, v1, vcc
	global_store_dwordx4 v[0:1], v[110:113], off
	v_lshlrev_b64 v[0:1], 4, v[102:103]
	v_add_co_u32_e32 v0, vcc, v126, v0
	v_addc_co_u32_e32 v1, vcc, v127, v1, vcc
	global_store_dwordx4 v[0:1], v[8:11], off
	v_lshrrev_b32_e32 v0, 4, v3
	v_mul_u32_u24_e32 v1, 0x2ee, v0
	v_sub_u32_e32 v1, v2, v1
	v_mad_u32_u24 v102, v0, s0, v1
	v_lshlrev_b64 v[0:1], 4, v[102:103]
	v_add_u32_e32 v2, 0x177, v170
	v_add_co_u32_e32 v0, vcc, v126, v0
	v_addc_co_u32_e32 v1, vcc, v127, v1, vcc
	global_store_dwordx4 v[0:1], v[98:101], off
	v_add_u32_e32 v0, 0x2ee, v102
	v_mov_b32_e32 v1, v103
	v_lshlrev_b64 v[0:1], 4, v[0:1]
	v_mul_hi_u32 v3, v2, s1
	v_add_co_u32_e32 v0, vcc, v126, v0
	v_addc_co_u32_e32 v1, vcc, v127, v1, vcc
	global_store_dwordx4 v[0:1], v[94:97], off
	v_add_u32_e32 v0, 0x5dc, v102
	v_mov_b32_e32 v1, v103
	v_lshlrev_b64 v[0:1], 4, v[0:1]
	v_add_co_u32_e32 v0, vcc, v126, v0
	v_addc_co_u32_e32 v1, vcc, v127, v1, vcc
	global_store_dwordx4 v[0:1], v[90:93], off
	v_add_u32_e32 v0, 0x8ca, v102
	v_mov_b32_e32 v1, v103
	v_lshlrev_b64 v[0:1], 4, v[0:1]
	v_add_u32_e32 v102, 0xbb8, v102
	v_add_co_u32_e32 v0, vcc, v126, v0
	v_addc_co_u32_e32 v1, vcc, v127, v1, vcc
	global_store_dwordx4 v[0:1], v[86:89], off
	v_lshlrev_b64 v[0:1], 4, v[102:103]
	v_add_co_u32_e32 v0, vcc, v126, v0
	v_addc_co_u32_e32 v1, vcc, v127, v1, vcc
	global_store_dwordx4 v[0:1], v[20:23], off
	v_lshrrev_b32_e32 v0, 4, v3
	v_mul_u32_u24_e32 v1, 0x2ee, v0
	v_sub_u32_e32 v1, v2, v1
	v_mad_u32_u24 v102, v0, s0, v1
	v_lshlrev_b64 v[0:1], 4, v[102:103]
	v_add_u32_e32 v2, 0x1f4, v170
	v_add_co_u32_e32 v0, vcc, v126, v0
	v_addc_co_u32_e32 v1, vcc, v127, v1, vcc
	global_store_dwordx4 v[0:1], v[82:85], off
	v_add_u32_e32 v0, 0x2ee, v102
	v_mov_b32_e32 v1, v103
	v_lshlrev_b64 v[0:1], 4, v[0:1]
	v_mul_hi_u32 v3, v2, s1
	v_add_co_u32_e32 v0, vcc, v126, v0
	v_addc_co_u32_e32 v1, vcc, v127, v1, vcc
	global_store_dwordx4 v[0:1], v[78:81], off
	v_add_u32_e32 v0, 0x5dc, v102
	v_mov_b32_e32 v1, v103
	v_lshlrev_b64 v[0:1], 4, v[0:1]
	;; [unrolled: 33-line block ×3, first 2 shown]
	v_add_co_u32_e32 v0, vcc, v126, v0
	v_addc_co_u32_e32 v1, vcc, v127, v1, vcc
	global_store_dwordx4 v[0:1], v[52:55], off
	v_add_u32_e32 v0, 0x8ca, v102
	v_mov_b32_e32 v1, v103
	v_lshlrev_b64 v[0:1], 4, v[0:1]
	v_add_u32_e32 v102, 0xbb8, v102
	v_add_co_u32_e32 v0, vcc, v126, v0
	v_addc_co_u32_e32 v1, vcc, v127, v1, vcc
	global_store_dwordx4 v[0:1], v[48:51], off
	v_lshlrev_b64 v[0:1], 4, v[102:103]
	v_add_co_u32_e32 v0, vcc, v126, v0
	v_addc_co_u32_e32 v1, vcc, v127, v1, vcc
	global_store_dwordx4 v[0:1], v[44:47], off
	v_lshrrev_b32_e32 v0, 4, v3
	v_mul_u32_u24_e32 v1, 0x2ee, v0
	v_sub_u32_e32 v1, v2, v1
	v_mad_u32_u24 v102, v0, s0, v1
	v_lshlrev_b64 v[0:1], 4, v[102:103]
	v_add_co_u32_e32 v0, vcc, v126, v0
	v_addc_co_u32_e32 v1, vcc, v127, v1, vcc
	global_store_dwordx4 v[0:1], v[40:43], off
	v_add_u32_e32 v0, 0x2ee, v102
	v_mov_b32_e32 v1, v103
	v_lshlrev_b64 v[0:1], 4, v[0:1]
	v_add_co_u32_e32 v0, vcc, v126, v0
	v_addc_co_u32_e32 v1, vcc, v127, v1, vcc
	global_store_dwordx4 v[0:1], v[36:39], off
	v_add_u32_e32 v0, 0x5dc, v102
	v_mov_b32_e32 v1, v103
	;; [unrolled: 6-line block ×3, first 2 shown]
	v_lshlrev_b64 v[0:1], 4, v[0:1]
	v_add_u32_e32 v102, 0xbb8, v102
	v_add_co_u32_e32 v0, vcc, v126, v0
	v_addc_co_u32_e32 v1, vcc, v127, v1, vcc
	global_store_dwordx4 v[0:1], v[28:31], off
	v_lshlrev_b64 v[0:1], 4, v[102:103]
	v_add_co_u32_e32 v0, vcc, v126, v0
	v_addc_co_u32_e32 v1, vcc, v127, v1, vcc
	global_store_dwordx4 v[0:1], v[24:27], off
.LBB0_15:
	s_endpgm
	.section	.rodata,"a",@progbits
	.p2align	6, 0x0
	.amdhsa_kernel fft_rtc_back_len3750_factors_3_5_5_10_5_wgs_125_tpt_125_halfLds_dp_op_CI_CI_unitstride_sbrr_dirReg
		.amdhsa_group_segment_fixed_size 0
		.amdhsa_private_segment_fixed_size 0
		.amdhsa_kernarg_size 104
		.amdhsa_user_sgpr_count 6
		.amdhsa_user_sgpr_private_segment_buffer 1
		.amdhsa_user_sgpr_dispatch_ptr 0
		.amdhsa_user_sgpr_queue_ptr 0
		.amdhsa_user_sgpr_kernarg_segment_ptr 1
		.amdhsa_user_sgpr_dispatch_id 0
		.amdhsa_user_sgpr_flat_scratch_init 0
		.amdhsa_user_sgpr_private_segment_size 0
		.amdhsa_uses_dynamic_stack 0
		.amdhsa_system_sgpr_private_segment_wavefront_offset 0
		.amdhsa_system_sgpr_workgroup_id_x 1
		.amdhsa_system_sgpr_workgroup_id_y 0
		.amdhsa_system_sgpr_workgroup_id_z 0
		.amdhsa_system_sgpr_workgroup_info 0
		.amdhsa_system_vgpr_workitem_id 0
		.amdhsa_next_free_vgpr 231
		.amdhsa_next_free_sgpr 28
		.amdhsa_reserve_vcc 1
		.amdhsa_reserve_flat_scratch 0
		.amdhsa_float_round_mode_32 0
		.amdhsa_float_round_mode_16_64 0
		.amdhsa_float_denorm_mode_32 3
		.amdhsa_float_denorm_mode_16_64 3
		.amdhsa_dx10_clamp 1
		.amdhsa_ieee_mode 1
		.amdhsa_fp16_overflow 0
		.amdhsa_exception_fp_ieee_invalid_op 0
		.amdhsa_exception_fp_denorm_src 0
		.amdhsa_exception_fp_ieee_div_zero 0
		.amdhsa_exception_fp_ieee_overflow 0
		.amdhsa_exception_fp_ieee_underflow 0
		.amdhsa_exception_fp_ieee_inexact 0
		.amdhsa_exception_int_div_zero 0
	.end_amdhsa_kernel
	.text
.Lfunc_end0:
	.size	fft_rtc_back_len3750_factors_3_5_5_10_5_wgs_125_tpt_125_halfLds_dp_op_CI_CI_unitstride_sbrr_dirReg, .Lfunc_end0-fft_rtc_back_len3750_factors_3_5_5_10_5_wgs_125_tpt_125_halfLds_dp_op_CI_CI_unitstride_sbrr_dirReg
                                        ; -- End function
	.section	.AMDGPU.csdata,"",@progbits
; Kernel info:
; codeLenInByte = 23844
; NumSgprs: 32
; NumVgprs: 231
; ScratchSize: 0
; MemoryBound: 1
; FloatMode: 240
; IeeeMode: 1
; LDSByteSize: 0 bytes/workgroup (compile time only)
; SGPRBlocks: 3
; VGPRBlocks: 57
; NumSGPRsForWavesPerEU: 32
; NumVGPRsForWavesPerEU: 231
; Occupancy: 1
; WaveLimiterHint : 1
; COMPUTE_PGM_RSRC2:SCRATCH_EN: 0
; COMPUTE_PGM_RSRC2:USER_SGPR: 6
; COMPUTE_PGM_RSRC2:TRAP_HANDLER: 0
; COMPUTE_PGM_RSRC2:TGID_X_EN: 1
; COMPUTE_PGM_RSRC2:TGID_Y_EN: 0
; COMPUTE_PGM_RSRC2:TGID_Z_EN: 0
; COMPUTE_PGM_RSRC2:TIDIG_COMP_CNT: 0
	.type	__hip_cuid_9807e7bfa547142c,@object ; @__hip_cuid_9807e7bfa547142c
	.section	.bss,"aw",@nobits
	.globl	__hip_cuid_9807e7bfa547142c
__hip_cuid_9807e7bfa547142c:
	.byte	0                               ; 0x0
	.size	__hip_cuid_9807e7bfa547142c, 1

	.ident	"AMD clang version 19.0.0git (https://github.com/RadeonOpenCompute/llvm-project roc-6.4.0 25133 c7fe45cf4b819c5991fe208aaa96edf142730f1d)"
	.section	".note.GNU-stack","",@progbits
	.addrsig
	.addrsig_sym __hip_cuid_9807e7bfa547142c
	.amdgpu_metadata
---
amdhsa.kernels:
  - .args:
      - .actual_access:  read_only
        .address_space:  global
        .offset:         0
        .size:           8
        .value_kind:     global_buffer
      - .offset:         8
        .size:           8
        .value_kind:     by_value
      - .actual_access:  read_only
        .address_space:  global
        .offset:         16
        .size:           8
        .value_kind:     global_buffer
      - .actual_access:  read_only
        .address_space:  global
        .offset:         24
        .size:           8
        .value_kind:     global_buffer
      - .actual_access:  read_only
        .address_space:  global
        .offset:         32
        .size:           8
        .value_kind:     global_buffer
      - .offset:         40
        .size:           8
        .value_kind:     by_value
      - .actual_access:  read_only
        .address_space:  global
        .offset:         48
        .size:           8
        .value_kind:     global_buffer
      - .actual_access:  read_only
        .address_space:  global
        .offset:         56
        .size:           8
        .value_kind:     global_buffer
      - .offset:         64
        .size:           4
        .value_kind:     by_value
      - .actual_access:  read_only
        .address_space:  global
        .offset:         72
        .size:           8
        .value_kind:     global_buffer
      - .actual_access:  read_only
        .address_space:  global
        .offset:         80
        .size:           8
        .value_kind:     global_buffer
      - .actual_access:  read_only
        .address_space:  global
        .offset:         88
        .size:           8
        .value_kind:     global_buffer
      - .actual_access:  write_only
        .address_space:  global
        .offset:         96
        .size:           8
        .value_kind:     global_buffer
    .group_segment_fixed_size: 0
    .kernarg_segment_align: 8
    .kernarg_segment_size: 104
    .language:       OpenCL C
    .language_version:
      - 2
      - 0
    .max_flat_workgroup_size: 125
    .name:           fft_rtc_back_len3750_factors_3_5_5_10_5_wgs_125_tpt_125_halfLds_dp_op_CI_CI_unitstride_sbrr_dirReg
    .private_segment_fixed_size: 0
    .sgpr_count:     32
    .sgpr_spill_count: 0
    .symbol:         fft_rtc_back_len3750_factors_3_5_5_10_5_wgs_125_tpt_125_halfLds_dp_op_CI_CI_unitstride_sbrr_dirReg.kd
    .uniform_work_group_size: 1
    .uses_dynamic_stack: false
    .vgpr_count:     231
    .vgpr_spill_count: 0
    .wavefront_size: 64
amdhsa.target:   amdgcn-amd-amdhsa--gfx906
amdhsa.version:
  - 1
  - 2
...

	.end_amdgpu_metadata
